;; amdgpu-corpus repo=ROCm/rocFFT kind=compiled arch=gfx906 opt=O3
	.text
	.amdgcn_target "amdgcn-amd-amdhsa--gfx906"
	.amdhsa_code_object_version 6
	.protected	fft_rtc_fwd_len4050_factors_10_5_3_3_3_3_wgs_135_tpt_135_halfLds_sp_ip_CI_unitstride_sbrr_dirReg ; -- Begin function fft_rtc_fwd_len4050_factors_10_5_3_3_3_3_wgs_135_tpt_135_halfLds_sp_ip_CI_unitstride_sbrr_dirReg
	.globl	fft_rtc_fwd_len4050_factors_10_5_3_3_3_3_wgs_135_tpt_135_halfLds_sp_ip_CI_unitstride_sbrr_dirReg
	.p2align	8
	.type	fft_rtc_fwd_len4050_factors_10_5_3_3_3_3_wgs_135_tpt_135_halfLds_sp_ip_CI_unitstride_sbrr_dirReg,@function
fft_rtc_fwd_len4050_factors_10_5_3_3_3_3_wgs_135_tpt_135_halfLds_sp_ip_CI_unitstride_sbrr_dirReg: ; @fft_rtc_fwd_len4050_factors_10_5_3_3_3_3_wgs_135_tpt_135_halfLds_sp_ip_CI_unitstride_sbrr_dirReg
; %bb.0:
	s_load_dwordx2 s[2:3], s[4:5], 0x50
	s_load_dwordx4 s[8:11], s[4:5], 0x0
	s_load_dwordx2 s[12:13], s[4:5], 0x18
	v_mul_u32_u24_e32 v1, 0x1e6, v0
	v_add_u32_sdwa v5, s6, v1 dst_sel:DWORD dst_unused:UNUSED_PAD src0_sel:DWORD src1_sel:WORD_1
	v_mov_b32_e32 v3, 0
	s_waitcnt lgkmcnt(0)
	v_cmp_lt_u64_e64 s[0:1], s[10:11], 2
	v_mov_b32_e32 v1, 0
	v_mov_b32_e32 v6, v3
	s_and_b64 vcc, exec, s[0:1]
	v_mov_b32_e32 v2, 0
	s_cbranch_vccnz .LBB0_8
; %bb.1:
	s_load_dwordx2 s[0:1], s[4:5], 0x10
	s_add_u32 s6, s12, 8
	s_addc_u32 s7, s13, 0
	v_mov_b32_e32 v1, 0
	v_mov_b32_e32 v2, 0
	s_waitcnt lgkmcnt(0)
	s_add_u32 s14, s0, 8
	s_addc_u32 s15, s1, 0
	s_mov_b64 s[16:17], 1
.LBB0_2:                                ; =>This Inner Loop Header: Depth=1
	s_load_dwordx2 s[18:19], s[14:15], 0x0
                                        ; implicit-def: $vgpr7_vgpr8
	s_waitcnt lgkmcnt(0)
	v_or_b32_e32 v4, s19, v6
	v_cmp_ne_u64_e32 vcc, 0, v[3:4]
	s_and_saveexec_b64 s[0:1], vcc
	s_xor_b64 s[20:21], exec, s[0:1]
	s_cbranch_execz .LBB0_4
; %bb.3:                                ;   in Loop: Header=BB0_2 Depth=1
	v_cvt_f32_u32_e32 v4, s18
	v_cvt_f32_u32_e32 v7, s19
	s_sub_u32 s0, 0, s18
	s_subb_u32 s1, 0, s19
	v_mac_f32_e32 v4, 0x4f800000, v7
	v_rcp_f32_e32 v4, v4
	v_mul_f32_e32 v4, 0x5f7ffffc, v4
	v_mul_f32_e32 v7, 0x2f800000, v4
	v_trunc_f32_e32 v7, v7
	v_mac_f32_e32 v4, 0xcf800000, v7
	v_cvt_u32_f32_e32 v7, v7
	v_cvt_u32_f32_e32 v4, v4
	v_mul_lo_u32 v8, s0, v7
	v_mul_hi_u32 v9, s0, v4
	v_mul_lo_u32 v11, s1, v4
	v_mul_lo_u32 v10, s0, v4
	v_add_u32_e32 v8, v9, v8
	v_add_u32_e32 v8, v8, v11
	v_mul_hi_u32 v9, v4, v10
	v_mul_lo_u32 v11, v4, v8
	v_mul_hi_u32 v13, v4, v8
	v_mul_hi_u32 v12, v7, v10
	v_mul_lo_u32 v10, v7, v10
	v_mul_hi_u32 v14, v7, v8
	v_add_co_u32_e32 v9, vcc, v9, v11
	v_addc_co_u32_e32 v11, vcc, 0, v13, vcc
	v_mul_lo_u32 v8, v7, v8
	v_add_co_u32_e32 v9, vcc, v9, v10
	v_addc_co_u32_e32 v9, vcc, v11, v12, vcc
	v_addc_co_u32_e32 v10, vcc, 0, v14, vcc
	v_add_co_u32_e32 v8, vcc, v9, v8
	v_addc_co_u32_e32 v9, vcc, 0, v10, vcc
	v_add_co_u32_e32 v4, vcc, v4, v8
	v_addc_co_u32_e32 v7, vcc, v7, v9, vcc
	v_mul_lo_u32 v8, s0, v7
	v_mul_hi_u32 v9, s0, v4
	v_mul_lo_u32 v10, s1, v4
	v_mul_lo_u32 v11, s0, v4
	v_add_u32_e32 v8, v9, v8
	v_add_u32_e32 v8, v8, v10
	v_mul_lo_u32 v12, v4, v8
	v_mul_hi_u32 v13, v4, v11
	v_mul_hi_u32 v14, v4, v8
	;; [unrolled: 1-line block ×3, first 2 shown]
	v_mul_lo_u32 v11, v7, v11
	v_mul_hi_u32 v9, v7, v8
	v_add_co_u32_e32 v12, vcc, v13, v12
	v_addc_co_u32_e32 v13, vcc, 0, v14, vcc
	v_mul_lo_u32 v8, v7, v8
	v_add_co_u32_e32 v11, vcc, v12, v11
	v_addc_co_u32_e32 v10, vcc, v13, v10, vcc
	v_addc_co_u32_e32 v9, vcc, 0, v9, vcc
	v_add_co_u32_e32 v8, vcc, v10, v8
	v_addc_co_u32_e32 v9, vcc, 0, v9, vcc
	v_add_co_u32_e32 v4, vcc, v4, v8
	v_addc_co_u32_e32 v9, vcc, v7, v9, vcc
	v_mad_u64_u32 v[7:8], s[0:1], v5, v9, 0
	v_mul_hi_u32 v10, v5, v4
	v_add_co_u32_e32 v11, vcc, v10, v7
	v_addc_co_u32_e32 v12, vcc, 0, v8, vcc
	v_mad_u64_u32 v[7:8], s[0:1], v6, v4, 0
	v_mad_u64_u32 v[9:10], s[0:1], v6, v9, 0
	v_add_co_u32_e32 v4, vcc, v11, v7
	v_addc_co_u32_e32 v4, vcc, v12, v8, vcc
	v_addc_co_u32_e32 v7, vcc, 0, v10, vcc
	v_add_co_u32_e32 v4, vcc, v4, v9
	v_addc_co_u32_e32 v9, vcc, 0, v7, vcc
	v_mul_lo_u32 v10, s19, v4
	v_mul_lo_u32 v11, s18, v9
	v_mad_u64_u32 v[7:8], s[0:1], s18, v4, 0
	v_add3_u32 v8, v8, v11, v10
	v_sub_u32_e32 v10, v6, v8
	v_mov_b32_e32 v11, s19
	v_sub_co_u32_e32 v7, vcc, v5, v7
	v_subb_co_u32_e64 v10, s[0:1], v10, v11, vcc
	v_subrev_co_u32_e64 v11, s[0:1], s18, v7
	v_subbrev_co_u32_e64 v10, s[0:1], 0, v10, s[0:1]
	v_cmp_le_u32_e64 s[0:1], s19, v10
	v_cndmask_b32_e64 v12, 0, -1, s[0:1]
	v_cmp_le_u32_e64 s[0:1], s18, v11
	v_cndmask_b32_e64 v11, 0, -1, s[0:1]
	v_cmp_eq_u32_e64 s[0:1], s19, v10
	v_cndmask_b32_e64 v10, v12, v11, s[0:1]
	v_add_co_u32_e64 v11, s[0:1], 2, v4
	v_addc_co_u32_e64 v12, s[0:1], 0, v9, s[0:1]
	v_add_co_u32_e64 v13, s[0:1], 1, v4
	v_addc_co_u32_e64 v14, s[0:1], 0, v9, s[0:1]
	v_subb_co_u32_e32 v8, vcc, v6, v8, vcc
	v_cmp_ne_u32_e64 s[0:1], 0, v10
	v_cmp_le_u32_e32 vcc, s19, v8
	v_cndmask_b32_e64 v10, v14, v12, s[0:1]
	v_cndmask_b32_e64 v12, 0, -1, vcc
	v_cmp_le_u32_e32 vcc, s18, v7
	v_cndmask_b32_e64 v7, 0, -1, vcc
	v_cmp_eq_u32_e32 vcc, s19, v8
	v_cndmask_b32_e32 v7, v12, v7, vcc
	v_cmp_ne_u32_e32 vcc, 0, v7
	v_cndmask_b32_e64 v7, v13, v11, s[0:1]
	v_cndmask_b32_e32 v8, v9, v10, vcc
	v_cndmask_b32_e32 v7, v4, v7, vcc
.LBB0_4:                                ;   in Loop: Header=BB0_2 Depth=1
	s_andn2_saveexec_b64 s[0:1], s[20:21]
	s_cbranch_execz .LBB0_6
; %bb.5:                                ;   in Loop: Header=BB0_2 Depth=1
	v_cvt_f32_u32_e32 v4, s18
	s_sub_i32 s20, 0, s18
	v_rcp_iflag_f32_e32 v4, v4
	v_mul_f32_e32 v4, 0x4f7ffffe, v4
	v_cvt_u32_f32_e32 v4, v4
	v_mul_lo_u32 v7, s20, v4
	v_mul_hi_u32 v7, v4, v7
	v_add_u32_e32 v4, v4, v7
	v_mul_hi_u32 v4, v5, v4
	v_mul_lo_u32 v7, v4, s18
	v_add_u32_e32 v8, 1, v4
	v_sub_u32_e32 v7, v5, v7
	v_subrev_u32_e32 v9, s18, v7
	v_cmp_le_u32_e32 vcc, s18, v7
	v_cndmask_b32_e32 v7, v7, v9, vcc
	v_cndmask_b32_e32 v4, v4, v8, vcc
	v_add_u32_e32 v8, 1, v4
	v_cmp_le_u32_e32 vcc, s18, v7
	v_cndmask_b32_e32 v7, v4, v8, vcc
	v_mov_b32_e32 v8, v3
.LBB0_6:                                ;   in Loop: Header=BB0_2 Depth=1
	s_or_b64 exec, exec, s[0:1]
	v_mul_lo_u32 v4, v8, s18
	v_mul_lo_u32 v11, v7, s19
	v_mad_u64_u32 v[9:10], s[0:1], v7, s18, 0
	s_load_dwordx2 s[0:1], s[6:7], 0x0
	s_add_u32 s16, s16, 1
	v_add3_u32 v4, v10, v11, v4
	v_sub_co_u32_e32 v5, vcc, v5, v9
	v_subb_co_u32_e32 v4, vcc, v6, v4, vcc
	s_waitcnt lgkmcnt(0)
	v_mul_lo_u32 v4, s0, v4
	v_mul_lo_u32 v6, s1, v5
	v_mad_u64_u32 v[1:2], s[0:1], s0, v5, v[1:2]
	s_addc_u32 s17, s17, 0
	s_add_u32 s6, s6, 8
	v_add3_u32 v2, v6, v2, v4
	v_mov_b32_e32 v4, s10
	v_mov_b32_e32 v5, s11
	s_addc_u32 s7, s7, 0
	v_cmp_ge_u64_e32 vcc, s[16:17], v[4:5]
	s_add_u32 s14, s14, 8
	s_addc_u32 s15, s15, 0
	s_cbranch_vccnz .LBB0_9
; %bb.7:                                ;   in Loop: Header=BB0_2 Depth=1
	v_mov_b32_e32 v5, v7
	v_mov_b32_e32 v6, v8
	s_branch .LBB0_2
.LBB0_8:
	v_mov_b32_e32 v8, v6
	v_mov_b32_e32 v7, v5
.LBB0_9:
	s_lshl_b64 s[0:1], s[10:11], 3
	s_add_u32 s0, s12, s0
	s_addc_u32 s1, s13, s1
	s_load_dwordx2 s[6:7], s[0:1], 0x0
	s_load_dwordx2 s[10:11], s[4:5], 0x20
                                        ; implicit-def: $vgpr24
                                        ; implicit-def: $vgpr22
                                        ; implicit-def: $vgpr16
                                        ; implicit-def: $vgpr20
                                        ; implicit-def: $vgpr14
                                        ; implicit-def: $vgpr18
                                        ; implicit-def: $vgpr60
                                        ; implicit-def: $vgpr12
                                        ; implicit-def: $vgpr44
                                        ; implicit-def: $vgpr42
                                        ; implicit-def: $vgpr40
                                        ; implicit-def: $vgpr38
                                        ; implicit-def: $vgpr34
                                        ; implicit-def: $vgpr36
                                        ; implicit-def: $vgpr62
                                        ; implicit-def: $vgpr32
                                        ; implicit-def: $vgpr26
                                        ; implicit-def: $vgpr10
                                        ; implicit-def: $vgpr58
                                        ; implicit-def: $vgpr56
                                        ; implicit-def: $vgpr54
                                        ; implicit-def: $vgpr52
                                        ; implicit-def: $vgpr48
                                        ; implicit-def: $vgpr50
                                        ; implicit-def: $vgpr64
                                        ; implicit-def: $vgpr46
                                        ; implicit-def: $vgpr30
                                        ; implicit-def: $vgpr28
	s_waitcnt lgkmcnt(0)
	v_mad_u64_u32 v[1:2], s[0:1], s6, v7, v[1:2]
	v_mul_lo_u32 v3, s6, v8
	v_mul_lo_u32 v4, s7, v7
	s_mov_b32 s0, 0x1e573ad
	v_mul_hi_u32 v5, v0, s0
	v_cmp_gt_u64_e64 s[0:1], s[10:11], v[7:8]
	v_add3_u32 v2, v4, v2, v3
	v_lshlrev_b64 v[2:3], 3, v[1:2]
	v_mul_u32_u24_e32 v4, 0x87, v5
	v_sub_u32_e32 v0, v0, v4
                                        ; implicit-def: $vgpr7
                                        ; implicit-def: $vgpr5
	s_and_saveexec_b64 s[4:5], s[0:1]
	s_cbranch_execz .LBB0_11
; %bb.10:
	v_mov_b32_e32 v1, 0
	v_mov_b32_e32 v4, s3
	v_add_co_u32_e32 v6, vcc, s2, v2
	v_addc_co_u32_e32 v7, vcc, v4, v3, vcc
	v_lshlrev_b64 v[4:5], 3, v[0:1]
	s_movk_i32 s6, 0x1000
	v_add_co_u32_e32 v13, vcc, v6, v4
	v_addc_co_u32_e32 v14, vcc, v7, v5, vcc
	v_add_co_u32_e32 v15, vcc, s6, v13
	v_addc_co_u32_e32 v16, vcc, 0, v14, vcc
	s_movk_i32 s6, 0x2000
	v_add_co_u32_e32 v17, vcc, s6, v13
	v_addc_co_u32_e32 v18, vcc, 0, v14, vcc
	s_movk_i32 s6, 0x3000
	;; [unrolled: 3-line block ×6, first 2 shown]
	v_add_co_u32_e32 v73, vcc, s6, v13
	v_addc_co_u32_e32 v74, vcc, 0, v14, vcc
	global_load_dwordx2 v[27:28], v[13:14], off
	global_load_dwordx2 v[9:10], v[13:14], off offset:1080
	global_load_dwordx2 v[25:26], v[15:16], off offset:224
	;; [unrolled: 1-line block ×14, first 2 shown]
                                        ; kill: killed $vgpr17 killed $vgpr18
                                        ; kill: killed $vgpr13 killed $vgpr14
                                        ; kill: killed $vgpr15 killed $vgpr16
	s_nop 0
	global_load_dwordx2 v[17:18], v[65:66], off offset:2832
	global_load_dwordx2 v[33:34], v[67:68], off offset:896
	;; [unrolled: 1-line block ×15, first 2 shown]
.LBB0_11:
	s_or_b64 exec, exec, s[4:5]
	s_waitcnt vmcnt(23)
	v_add_f32_e32 v1, v45, v27
	s_waitcnt vmcnt(17)
	v_add_f32_e32 v1, v49, v1
	;; [unrolled: 2-line block ×4, first 2 shown]
	v_add_f32_e32 v1, v51, v49
	v_fma_f32 v1, -0.5, v1, v27
	v_sub_f32_e32 v8, v46, v56
	v_mov_b32_e32 v73, v1
	v_fmac_f32_e32 v73, 0x3f737871, v8
	v_sub_f32_e32 v65, v50, v52
	v_sub_f32_e32 v66, v45, v49
	;; [unrolled: 1-line block ×3, first 2 shown]
	v_fmac_f32_e32 v1, 0xbf737871, v8
	v_fmac_f32_e32 v73, 0x3f167918, v65
	v_add_f32_e32 v66, v67, v66
	v_fmac_f32_e32 v1, 0xbf167918, v65
	v_fmac_f32_e32 v73, 0x3e9e377a, v66
	;; [unrolled: 1-line block ×3, first 2 shown]
	v_add_f32_e32 v66, v55, v45
	v_fmac_f32_e32 v27, -0.5, v66
	v_mov_b32_e32 v74, v27
	v_fmac_f32_e32 v74, 0xbf737871, v65
	v_fmac_f32_e32 v27, 0x3f737871, v65
	v_fmac_f32_e32 v74, 0x3f167918, v8
	v_fmac_f32_e32 v27, 0xbf167918, v8
	v_add_f32_e32 v8, v63, v29
	v_add_f32_e32 v8, v47, v8
	;; [unrolled: 1-line block ×3, first 2 shown]
	v_sub_f32_e32 v66, v49, v45
	v_sub_f32_e32 v67, v51, v55
	s_waitcnt vmcnt(2)
	v_add_f32_e32 v72, v57, v8
	v_add_f32_e32 v8, v53, v47
	;; [unrolled: 1-line block ×3, first 2 shown]
	v_fma_f32 v81, -0.5, v8, v29
	v_fmac_f32_e32 v74, 0x3e9e377a, v66
	v_fmac_f32_e32 v27, 0x3e9e377a, v66
	v_sub_f32_e32 v66, v64, v58
	v_mov_b32_e32 v8, v81
	v_fmac_f32_e32 v8, 0x3f737871, v66
	v_sub_f32_e32 v67, v48, v54
	v_sub_f32_e32 v65, v63, v47
	;; [unrolled: 1-line block ×3, first 2 shown]
	v_fmac_f32_e32 v81, 0xbf737871, v66
	v_fmac_f32_e32 v8, 0x3f167918, v67
	v_add_f32_e32 v65, v68, v65
	v_fmac_f32_e32 v81, 0xbf167918, v67
	v_fmac_f32_e32 v8, 0x3e9e377a, v65
	;; [unrolled: 1-line block ×3, first 2 shown]
	v_add_f32_e32 v65, v57, v63
	v_fmac_f32_e32 v29, -0.5, v65
	v_mov_b32_e32 v65, v29
	v_fmac_f32_e32 v65, 0xbf737871, v67
	v_fmac_f32_e32 v29, 0x3f737871, v67
	v_add_f32_e32 v67, v54, v48
	v_fma_f32 v82, -0.5, v67, v30
	v_sub_f32_e32 v68, v47, v63
	v_sub_f32_e32 v69, v53, v57
	;; [unrolled: 1-line block ×3, first 2 shown]
	v_mov_b32_e32 v57, v82
	v_fmac_f32_e32 v57, 0xbf737871, v63
	v_sub_f32_e32 v53, v47, v53
	v_sub_f32_e32 v47, v64, v48
	;; [unrolled: 1-line block ×3, first 2 shown]
	v_fmac_f32_e32 v82, 0x3f737871, v63
	v_fmac_f32_e32 v57, 0xbf167918, v53
	v_add_f32_e32 v47, v67, v47
	v_fmac_f32_e32 v82, 0x3f167918, v53
	v_fmac_f32_e32 v57, 0x3e9e377a, v47
	;; [unrolled: 1-line block ×3, first 2 shown]
	v_add_f32_e32 v47, v58, v64
	v_fmac_f32_e32 v65, 0x3f167918, v66
	v_fmac_f32_e32 v29, 0xbf167918, v66
	v_add_f32_e32 v66, v64, v30
	v_fmac_f32_e32 v30, -0.5, v47
	v_mov_b32_e32 v47, v30
	v_add_f32_e32 v68, v69, v68
	v_fmac_f32_e32 v47, 0x3f737871, v53
	v_sub_f32_e32 v64, v48, v64
	v_sub_f32_e32 v67, v54, v58
	v_fmac_f32_e32 v65, 0x3e9e377a, v68
	v_fmac_f32_e32 v47, 0xbf167918, v63
	v_add_f32_e32 v64, v67, v64
	v_fmac_f32_e32 v30, 0xbf737871, v53
	v_fmac_f32_e32 v29, 0x3e9e377a, v68
	;; [unrolled: 1-line block ×4, first 2 shown]
	v_mul_f32_e32 v75, 0x3e9e377a, v65
	s_mov_b32 s5, 0x3f737871
	v_fmac_f32_e32 v30, 0x3e9e377a, v64
	v_mul_f32_e32 v64, 0x3f4f1bbd, v8
	v_fmac_f32_e32 v75, 0x3f737871, v47
	v_mul_f32_e32 v53, 0x3e9e377a, v29
	v_fmac_f32_e32 v64, 0x3f167918, v57
	v_add_f32_e32 v69, v74, v75
	v_fma_f32 v53, v30, s5, -v53
	v_sub_f32_e32 v74, v74, v75
	v_mul_u32_u24_e32 v75, 10, v0
	v_add_f32_e32 v67, v72, v71
	v_add_f32_e32 v68, v73, v64
	;; [unrolled: 1-line block ×3, first 2 shown]
	v_lshl_add_u32 v83, v75, 2, 0
	ds_write2_b64 v83, v[67:68], v[69:70] offset1:1
	v_add_f32_e32 v67, v37, v35
	s_mov_b32 s4, 0x3f167918
	v_mul_f32_e32 v63, 0x3f4f1bbd, v81
	v_fma_f32 v69, -0.5, v67, v9
	v_sub_f32_e32 v67, v31, v35
	v_sub_f32_e32 v68, v41, v37
	v_fma_f32 v63, v82, s4, -v63
	v_add_f32_e32 v75, v68, v67
	v_add_f32_e32 v67, v41, v31
	v_sub_f32_e32 v72, v71, v72
	v_add_f32_e32 v71, v1, v63
	v_sub_f32_e32 v73, v73, v64
	v_add_f32_e32 v64, v31, v9
	v_fmac_f32_e32 v9, -0.5, v67
	v_sub_f32_e32 v67, v35, v31
	v_sub_f32_e32 v68, v37, v41
	;; [unrolled: 1-line block ×3, first 2 shown]
	ds_write2_b64 v83, v[71:72], v[73:74] offset0:2 offset1:3
	v_mov_b32_e32 v71, v9
	v_add_f32_e32 v67, v68, v67
	v_sub_f32_e32 v68, v61, v33
	s_waitcnt vmcnt(1)
	v_sub_f32_e32 v72, v43, v39
	v_sub_f32_e32 v70, v32, v42
	v_fmac_f32_e32 v71, 0xbf737871, v76
	v_fmac_f32_e32 v9, 0x3f737871, v76
	v_add_f32_e32 v72, v72, v68
	v_add_f32_e32 v68, v39, v33
	v_fmac_f32_e32 v71, 0x3f167918, v70
	v_fmac_f32_e32 v9, 0xbf167918, v70
	v_fma_f32 v89, -0.5, v68, v25
	v_add_f32_e32 v68, v43, v61
	v_fmac_f32_e32 v71, 0x3e9e377a, v67
	v_fmac_f32_e32 v9, 0x3e9e377a, v67
	v_add_f32_e32 v67, v61, v25
	v_fmac_f32_e32 v25, -0.5, v68
	v_sub_f32_e32 v68, v33, v61
	v_sub_f32_e32 v73, v39, v43
	v_add_f32_e32 v68, v73, v68
	v_sub_f32_e32 v73, v34, v40
	v_mov_b32_e32 v90, v25
	v_fmac_f32_e32 v90, 0xbf737871, v73
	v_sub_f32_e32 v74, v62, v44
	v_fmac_f32_e32 v25, 0x3f737871, v73
	v_fmac_f32_e32 v90, 0x3f167918, v74
	;; [unrolled: 1-line block ×5, first 2 shown]
	v_sub_f32_e32 v68, v62, v34
	v_sub_f32_e32 v77, v44, v40
	v_add_f32_e32 v77, v77, v68
	v_add_f32_e32 v68, v40, v34
	v_fma_f32 v91, -0.5, v68, v26
	v_add_f32_e32 v68, v44, v62
	v_add_f32_e32 v92, v62, v26
	v_fmac_f32_e32 v26, -0.5, v68
	v_sub_f32_e32 v79, v33, v39
	v_mov_b32_e32 v93, v26
	v_mov_b32_e32 v94, v89
	v_sub_f32_e32 v78, v61, v43
	v_sub_f32_e32 v61, v34, v62
	;; [unrolled: 1-line block ×3, first 2 shown]
	v_fmac_f32_e32 v93, 0x3f737871, v79
	v_fmac_f32_e32 v26, 0xbf737871, v79
	;; [unrolled: 1-line block ×3, first 2 shown]
	v_mov_b32_e32 v95, v91
	v_add_f32_e32 v61, v62, v61
	v_fmac_f32_e32 v93, 0xbf167918, v78
	v_fmac_f32_e32 v26, 0x3f167918, v78
	v_mov_b32_e32 v80, v69
	v_add_f32_e32 v33, v33, v67
	v_fmac_f32_e32 v94, 0x3f167918, v73
	v_fmac_f32_e32 v95, 0xbf737871, v78
	v_fmac_f32_e32 v93, 0x3e9e377a, v61
	v_fmac_f32_e32 v26, 0x3e9e377a, v61
	v_add_f32_e32 v61, v35, v64
	v_fmac_f32_e32 v80, 0x3f737871, v70
	v_add_f32_e32 v33, v39, v33
	v_fmac_f32_e32 v94, 0x3e9e377a, v72
	v_fmac_f32_e32 v95, 0xbf167918, v79
	v_add_f32_e32 v61, v37, v61
	v_fmac_f32_e32 v80, 0x3f167918, v76
	v_add_f32_e32 v39, v43, v33
	v_fmac_f32_e32 v95, 0x3e9e377a, v77
	v_mul_f32_e32 v43, 0x3f4f1bbd, v94
	v_mul_f32_e32 v84, 0x3e9e377a, v90
	;; [unrolled: 1-line block ×3, first 2 shown]
	v_fmac_f32_e32 v89, 0xbf737871, v74
	v_add_f32_e32 v64, v41, v61
	v_fmac_f32_e32 v80, 0x3e9e377a, v75
	v_fmac_f32_e32 v43, 0x3f167918, v95
	;; [unrolled: 1-line block ×3, first 2 shown]
	v_fma_f32 v85, v26, s5, -v33
	v_fmac_f32_e32 v89, 0xbf167918, v73
	v_fmac_f32_e32 v91, 0x3f737871, v78
	v_add_f32_e32 v61, v39, v64
	v_add_f32_e32 v62, v80, v43
	;; [unrolled: 1-line block ×4, first 2 shown]
	v_add_u32_e32 v33, 0x1518, v83
	v_fmac_f32_e32 v69, 0xbf737871, v70
	v_fmac_f32_e32 v89, 0x3e9e377a, v72
	;; [unrolled: 1-line block ×3, first 2 shown]
	ds_write2_b64 v33, v[61:62], v[67:68] offset1:1
	v_sub_f32_e32 v61, v80, v43
	v_fmac_f32_e32 v69, 0xbf167918, v76
	v_fmac_f32_e32 v91, 0x3e9e377a, v77
	v_mul_f32_e32 v43, 0x3f4f1bbd, v89
	v_fmac_f32_e32 v69, 0x3e9e377a, v75
	v_fma_f32 v43, v91, s4, -v43
	v_sub_f32_e32 v62, v71, v84
	v_sub_f32_e32 v68, v64, v39
	v_add_f32_e32 v67, v69, v43
	v_add_u32_e32 v84, 0x1528, v83
	ds_write2_b64 v84, v[67:68], v[61:62] offset1:1
	v_sub_f32_e32 v39, v11, v17
	v_sub_f32_e32 v61, v21, v19
	v_add_f32_e32 v39, v61, v39
	v_add_f32_e32 v61, v19, v17
	;; [unrolled: 1-line block ×3, first 2 shown]
	v_fma_f32 v64, -0.5, v61, v4
	v_add_f32_e32 v61, v11, v4
	v_fmac_f32_e32 v4, -0.5, v62
	v_sub_f32_e32 v62, v17, v11
	v_sub_f32_e32 v67, v19, v21
	v_add_f32_e32 v62, v67, v62
	v_sub_f32_e32 v67, v18, v20
	v_mov_b32_e32 v68, v4
	v_fmac_f32_e32 v68, 0xbf737871, v67
	v_sub_f32_e32 v70, v12, v22
	v_fmac_f32_e32 v4, 0x3f737871, v67
	v_fmac_f32_e32 v68, 0x3f167918, v70
	;; [unrolled: 1-line block ×5, first 2 shown]
	v_sub_f32_e32 v62, v59, v13
	s_waitcnt vmcnt(0)
	v_sub_f32_e32 v71, v23, v15
	v_add_f32_e32 v71, v71, v62
	v_add_f32_e32 v62, v15, v13
	v_add_f32_e32 v72, v23, v59
	v_fma_f32 v96, -0.5, v62, v6
	v_add_f32_e32 v62, v59, v6
	v_fmac_f32_e32 v6, -0.5, v72
	v_sub_f32_e32 v72, v13, v59
	v_sub_f32_e32 v73, v15, v23
	v_add_f32_e32 v72, v73, v72
	v_sub_f32_e32 v73, v14, v16
	v_mov_b32_e32 v97, v6
	v_fmac_f32_e32 v97, 0xbf737871, v73
	v_sub_f32_e32 v74, v60, v24
	v_fmac_f32_e32 v6, 0x3f737871, v73
	v_fmac_f32_e32 v97, 0x3f167918, v74
	;; [unrolled: 1-line block ×5, first 2 shown]
	v_sub_f32_e32 v72, v60, v14
	v_sub_f32_e32 v75, v24, v16
	v_add_f32_e32 v72, v75, v72
	v_add_f32_e32 v75, v16, v14
	v_fma_f32 v98, -0.5, v75, v7
	v_add_f32_e32 v75, v24, v60
	v_add_f32_e32 v99, v60, v7
	v_fmac_f32_e32 v7, -0.5, v75
	v_sub_f32_e32 v76, v13, v15
	v_mov_b32_e32 v100, v7
	v_mov_b32_e32 v101, v96
	v_sub_f32_e32 v75, v59, v23
	v_sub_f32_e32 v59, v14, v60
	;; [unrolled: 1-line block ×3, first 2 shown]
	v_fmac_f32_e32 v100, 0x3f737871, v76
	v_fmac_f32_e32 v7, 0xbf737871, v76
	;; [unrolled: 1-line block ×3, first 2 shown]
	v_mov_b32_e32 v102, v98
	v_add_f32_e32 v59, v60, v59
	v_fmac_f32_e32 v100, 0xbf167918, v75
	v_fmac_f32_e32 v7, 0x3f167918, v75
	v_mov_b32_e32 v78, v64
	v_add_f32_e32 v13, v13, v62
	v_fmac_f32_e32 v101, 0x3f167918, v73
	v_fmac_f32_e32 v102, 0xbf737871, v75
	;; [unrolled: 1-line block ×4, first 2 shown]
	v_add_f32_e32 v59, v17, v61
	v_fmac_f32_e32 v78, 0x3f737871, v70
	v_add_f32_e32 v13, v15, v13
	v_fmac_f32_e32 v101, 0x3e9e377a, v71
	v_fmac_f32_e32 v102, 0xbf167918, v76
	v_add_f32_e32 v59, v19, v59
	v_fmac_f32_e32 v78, 0x3f167918, v67
	v_add_f32_e32 v15, v23, v13
	v_fmac_f32_e32 v102, 0x3e9e377a, v72
	v_mul_f32_e32 v23, 0x3f4f1bbd, v101
	v_mul_f32_e32 v79, 0x3e9e377a, v97
	v_mul_f32_e32 v13, 0x3e9e377a, v6
	v_fmac_f32_e32 v96, 0xbf737871, v74
	v_add_f32_e32 v77, v21, v59
	v_fmac_f32_e32 v78, 0x3e9e377a, v39
	v_fmac_f32_e32 v23, 0x3f167918, v102
	v_fmac_f32_e32 v79, 0x3f737871, v100
	v_fma_f32 v80, v7, s5, -v13
	v_fmac_f32_e32 v96, 0xbf167918, v73
	v_fmac_f32_e32 v98, 0x3f737871, v75
	v_add_f32_e32 v59, v15, v77
	v_add_f32_e32 v60, v78, v23
	;; [unrolled: 1-line block ×4, first 2 shown]
	v_add_u32_e32 v13, 0x2a30, v83
	v_fmac_f32_e32 v64, 0xbf737871, v70
	v_fmac_f32_e32 v96, 0x3e9e377a, v71
	v_fmac_f32_e32 v98, 0x3f167918, v76
	ds_write2_b64 v13, v[59:60], v[61:62] offset1:1
	v_sub_f32_e32 v59, v78, v23
	v_fmac_f32_e32 v64, 0xbf167918, v67
	v_fmac_f32_e32 v98, 0x3e9e377a, v72
	v_mul_f32_e32 v23, 0x3f4f1bbd, v96
	v_fmac_f32_e32 v64, 0x3e9e377a, v39
	v_fma_f32 v23, v98, s4, -v23
	v_sub_f32_e32 v60, v68, v79
	v_sub_f32_e32 v62, v77, v15
	v_add_f32_e32 v61, v64, v23
	v_add_u32_e32 v15, 0x2a40, v83
	ds_write2_b64 v15, v[61:62], v[59:60] offset1:1
	v_add_f32_e32 v59, v52, v50
	v_sub_f32_e32 v104, v45, v55
	v_add_f32_e32 v45, v56, v46
	v_add_f32_e32 v39, v46, v28
	v_fma_f32 v109, -0.5, v59, v28
	v_fmac_f32_e32 v28, -0.5, v45
	v_sub_f32_e32 v103, v49, v51
	v_mov_b32_e32 v110, v28
	v_add_f32_e32 v39, v50, v39
	v_sub_f32_e32 v49, v46, v50
	v_sub_f32_e32 v50, v50, v46
	;; [unrolled: 1-line block ×3, first 2 shown]
	s_mov_b32 s4, 0xbf737871
	v_mul_f32_e32 v30, 0x3e9e377a, v30
	v_fmac_f32_e32 v110, 0x3f737871, v103
	v_fmac_f32_e32 v28, 0xbf737871, v103
	v_fma_f32 v107, v29, s4, -v30
	v_add_f32_e32 v29, v51, v50
	v_fmac_f32_e32 v110, 0xbf167918, v104
	v_fmac_f32_e32 v28, 0x3f167918, v104
	v_add_f32_e32 v39, v52, v39
	v_fmac_f32_e32 v110, 0x3e9e377a, v29
	v_fmac_f32_e32 v28, 0x3e9e377a, v29
	v_sub_f32_e32 v29, v27, v53
	v_mov_b32_e32 v27, v109
	v_sub_f32_e32 v46, v56, v52
	v_add_f32_e32 v105, v56, v39
	v_add_f32_e32 v39, v48, v66
	v_fmac_f32_e32 v27, 0xbf737871, v104
	v_add_f32_e32 v39, v54, v39
	v_add_f32_e32 v108, v46, v49
	v_mul_f32_e32 v111, 0xbf167918, v8
	v_mul_f32_e32 v112, 0xbf737871, v65
	v_fmac_f32_e32 v27, 0xbf167918, v103
	v_add_f32_e32 v106, v58, v39
	v_fmac_f32_e32 v111, 0x3f4f1bbd, v57
	v_fmac_f32_e32 v112, 0x3e9e377a, v47
	;; [unrolled: 1-line block ×3, first 2 shown]
	s_movk_i32 s5, 0xffdc
	v_sub_f32_e32 v30, v1, v63
	v_sub_f32_e32 v46, v69, v43
	;; [unrolled: 1-line block ×5, first 2 shown]
	v_add_f32_e32 v85, v106, v105
	v_add_f32_e32 v86, v27, v111
	;; [unrolled: 1-line block ×4, first 2 shown]
	v_mad_i32_i24 v1, v0, s5, v83
	v_fmac_f32_e32 v109, 0x3f737871, v104
	ds_write_b64 v83, v[29:30] offset:32
	ds_write_b64 v83, v[45:46] offset:5432
	;; [unrolled: 1-line block ×3, first 2 shown]
	s_waitcnt lgkmcnt(0)
	s_barrier
	v_add_u32_e32 v4, 0xc00, v1
	v_add_u32_e32 v75, 0x1800, v1
	;; [unrolled: 1-line block ×14, first 2 shown]
	ds_read2_b32 v[45:46], v1 offset1:135
	ds_read2_b32 v[69:70], v4 offset0:42 offset1:177
	ds_read2_b32 v[67:68], v75 offset0:84 offset1:219
	;; [unrolled: 1-line block ×14, first 2 shown]
	s_waitcnt lgkmcnt(0)
	s_barrier
	ds_write2_b64 v83, v[85:86], v[87:88] offset1:1
	v_sub_f32_e32 v85, v27, v111
	v_fmac_f32_e32 v109, 0x3f167918, v103
	s_mov_b32 s5, 0xbf167918
	v_mul_f32_e32 v27, 0x3f4f1bbd, v82
	v_fmac_f32_e32 v109, 0x3e9e377a, v108
	v_fma_f32 v87, v81, s5, -v27
	v_sub_f32_e32 v27, v28, v107
	v_add_f32_e32 v81, v109, v87
	v_sub_f32_e32 v28, v109, v87
	v_add_f32_e32 v87, v32, v10
	v_add_f32_e32 v87, v36, v87
	v_add_f32_e32 v88, v38, v36
	v_sub_f32_e32 v31, v31, v41
	v_add_f32_e32 v41, v38, v87
	v_sub_f32_e32 v35, v35, v37
	v_sub_f32_e32 v37, v32, v36
	;; [unrolled: 1-line block ×3, first 2 shown]
	v_add_f32_e32 v32, v42, v32
	v_sub_f32_e32 v87, v42, v38
	v_sub_f32_e32 v38, v38, v42
	v_add_f32_e32 v41, v42, v41
	v_mul_f32_e32 v26, 0x3e9e377a, v26
	v_fma_f32 v42, -0.5, v88, v10
	v_fma_f32 v25, v25, s4, -v26
	v_add_f32_e32 v26, v87, v37
	v_mov_b32_e32 v37, v42
	v_fmac_f32_e32 v10, -0.5, v32
	v_fmac_f32_e32 v37, 0xbf737871, v31
	v_fmac_f32_e32 v42, 0x3f737871, v31
	v_mov_b32_e32 v32, v10
	v_fmac_f32_e32 v37, 0xbf167918, v35
	v_fmac_f32_e32 v42, 0x3f167918, v35
	;; [unrolled: 1-line block ×6, first 2 shown]
	v_add_f32_e32 v26, v38, v36
	v_fmac_f32_e32 v32, 0xbf167918, v31
	v_fmac_f32_e32 v10, 0x3f167918, v31
	v_add_f32_e32 v34, v34, v92
	v_fmac_f32_e32 v32, 0x3e9e377a, v26
	v_fmac_f32_e32 v10, 0x3e9e377a, v26
	v_mul_f32_e32 v26, 0x3f4f1bbd, v91
	v_add_f32_e32 v34, v40, v34
	v_fma_f32 v38, v89, s5, -v26
	v_add_f32_e32 v26, v10, v25
	v_sub_f32_e32 v31, v10, v25
	v_add_f32_e32 v10, v12, v5
	v_add_f32_e32 v40, v44, v34
	v_mul_f32_e32 v36, 0xbf167918, v94
	v_mul_f32_e32 v34, 0xbf737871, v90
	v_add_f32_e32 v10, v18, v10
	v_fmac_f32_e32 v36, 0x3f4f1bbd, v95
	v_fmac_f32_e32 v34, 0x3e9e377a, v93
	v_add_f32_e32 v10, v20, v10
	v_add_f32_e32 v25, v32, v34
	v_sub_f32_e32 v35, v32, v34
	v_sub_f32_e32 v34, v37, v36
	v_add_f32_e32 v37, v37, v36
	v_add_f32_e32 v36, v40, v41
	v_sub_f32_e32 v41, v41, v40
	v_add_f32_e32 v40, v42, v38
	v_sub_f32_e32 v32, v42, v38
	;; [unrolled: 2-line block ×3, first 2 shown]
	v_sub_f32_e32 v19, v12, v18
	v_sub_f32_e32 v18, v18, v12
	;; [unrolled: 1-line block ×3, first 2 shown]
	v_add_f32_e32 v12, v22, v12
	v_sub_f32_e32 v21, v22, v20
	v_sub_f32_e32 v20, v20, v22
	v_add_f32_e32 v22, v22, v10
	v_add_f32_e32 v10, v14, v99
	;; [unrolled: 1-line block ×4, first 2 shown]
	v_mul_f32_e32 v7, 0x3e9e377a, v7
	v_fma_f32 v24, -0.5, v38, v5
	v_fma_f32 v7, v6, s4, -v7
	v_add_f32_e32 v6, v21, v19
	v_mov_b32_e32 v19, v24
	v_fmac_f32_e32 v5, -0.5, v12
	v_fmac_f32_e32 v19, 0xbf737871, v11
	v_fmac_f32_e32 v24, 0x3f737871, v11
	v_mov_b32_e32 v12, v5
	v_fmac_f32_e32 v19, 0xbf167918, v17
	v_fmac_f32_e32 v24, 0x3f167918, v17
	;; [unrolled: 1-line block ×6, first 2 shown]
	v_add_f32_e32 v6, v20, v18
	v_fmac_f32_e32 v12, 0xbf167918, v11
	v_fmac_f32_e32 v5, 0x3f167918, v11
	v_mul_f32_e32 v16, 0xbf737871, v97
	v_fmac_f32_e32 v12, 0x3e9e377a, v6
	v_fmac_f32_e32 v5, 0x3e9e377a, v6
	v_mul_f32_e32 v11, 0xbf167918, v101
	v_fmac_f32_e32 v16, 0x3e9e377a, v100
	v_mul_f32_e32 v6, 0x3f4f1bbd, v98
	v_sub_f32_e32 v86, v110, v112
	v_sub_f32_e32 v82, v105, v106
	v_fmac_f32_e32 v11, 0x3f4f1bbd, v102
	v_fma_f32 v38, v96, s5, -v6
	v_add_f32_e32 v6, v5, v7
	v_sub_f32_e32 v10, v5, v7
	v_add_f32_e32 v5, v12, v16
	s_movk_i32 s4, 0xcd
	v_sub_f32_e32 v17, v12, v16
	v_sub_f32_e32 v16, v19, v11
	v_add_f32_e32 v19, v19, v11
	v_add_f32_e32 v18, v14, v22
	v_sub_f32_e32 v21, v22, v14
	v_add_f32_e32 v20, v24, v38
	v_sub_f32_e32 v11, v24, v38
	ds_write2_b64 v83, v[81:82], v[85:86] offset0:2 offset1:3
	ds_write_b64 v83, v[27:28] offset:32
	ds_write2_b64 v33, v[36:37], v[25:26] offset1:1
	ds_write2_b64 v84, v[40:41], v[34:35] offset1:1
	ds_write_b64 v83, v[31:32] offset:5432
	ds_write2_b64 v13, v[18:19], v[5:6] offset1:1
	ds_write2_b64 v15, v[20:21], v[16:17] offset1:1
	ds_write_b64 v83, v[10:11] offset:10832
	v_mul_lo_u16_sdwa v5, v0, s4 dst_sel:DWORD dst_unused:UNUSED_PAD src0_sel:BYTE_0 src1_sel:DWORD
	v_lshrrev_b16_e32 v11, 11, v5
	v_mul_lo_u16_e32 v5, 10, v11
	v_sub_u16_e32 v28, v0, v5
	v_mov_b32_e32 v5, 5
	v_add_u32_e32 v38, 0x87, v0
	s_mov_b32 s4, 0xcccd
	v_lshlrev_b32_sdwa v7, v5, v28 dst_sel:DWORD dst_unused:UNUSED_PAD src0_sel:DWORD src1_sel:BYTE_0
	v_mul_u32_u24_sdwa v5, v38, s4 dst_sel:DWORD dst_unused:UNUSED_PAD src0_sel:WORD_0 src1_sel:DWORD
	s_waitcnt lgkmcnt(0)
	s_barrier
	global_load_dwordx4 v[19:22], v7, s[8:9]
	v_lshrrev_b32_e32 v5, 19, v5
	v_mul_lo_u16_e32 v6, 10, v5
	v_sub_u16_e32 v6, v38, v6
	v_lshlrev_b32_e32 v10, 5, v6
	global_load_dwordx4 v[24:27], v10, s[8:9]
	global_load_dwordx4 v[31:34], v7, s[8:9] offset:16
	global_load_dwordx4 v[83:86], v10, s[8:9] offset:16
	v_add_u32_e32 v37, 0x10e, v0
	v_mul_u32_u24_sdwa v7, v37, s4 dst_sel:DWORD dst_unused:UNUSED_PAD src0_sel:WORD_0 src1_sel:DWORD
	v_lshrrev_b32_e32 v7, 19, v7
	v_mul_lo_u16_e32 v10, 10, v7
	v_add_u32_e32 v81, 0x195, v0
	v_sub_u16_e32 v10, v37, v10
	v_mul_u32_u24_sdwa v12, v81, s4 dst_sel:DWORD dst_unused:UNUSED_PAD src0_sel:WORD_0 src1_sel:DWORD
	v_lshlrev_b32_e32 v14, 5, v10
	v_lshrrev_b32_e32 v12, 19, v12
	global_load_dwordx4 v[102:105], v14, s[8:9]
	v_mul_lo_u16_e32 v13, 10, v12
	v_sub_u16_e32 v13, v81, v13
	v_lshlrev_b32_e32 v15, 5, v13
	global_load_dwordx4 v[106:109], v15, s[8:9]
	global_load_dwordx4 v[110:113], v14, s[8:9] offset:16
	v_add_u32_e32 v42, 0x21c, v0
	v_mul_u32_u24_sdwa v14, v42, s4 dst_sel:DWORD dst_unused:UNUSED_PAD src0_sel:WORD_0 src1_sel:DWORD
	global_load_dwordx4 v[114:117], v15, s[8:9] offset:16
	v_lshrrev_b32_e32 v17, 19, v14
	v_mul_lo_u16_e32 v14, 10, v17
	v_sub_u16_e32 v18, v42, v14
	v_add_u32_e32 v36, 0x2a3, v0
	v_lshlrev_b32_e32 v35, 5, v18
	global_load_dwordx4 v[118:121], v35, s[8:9]
	v_mul_u32_u24_sdwa v14, v36, s4 dst_sel:DWORD dst_unused:UNUSED_PAD src0_sel:WORD_0 src1_sel:DWORD
	v_lshrrev_b32_e32 v15, 19, v14
	v_mul_lo_u16_e32 v14, 10, v15
	v_sub_u16_e32 v16, v36, v14
	ds_read2_b32 v[40:41], v4 offset0:42 offset1:177
	v_lshlrev_b32_e32 v44, 5, v16
	global_load_dwordx4 v[122:125], v44, s[8:9]
	global_load_dwordx4 v[126:129], v35, s[8:9] offset:16
	ds_read2_b32 v[90:91], v75 offset0:84 offset1:219
	v_mul_u32_u24_e32 v11, 0xc8, v11
	v_lshlrev_b32_e32 v6, 2, v6
	v_mul_u32_u24_e32 v5, 0xc8, v5
	v_mul_u32_u24_e32 v7, 0xc8, v7
	s_mov_b32 s5, 0x91a3
	s_movk_i32 s4, 0x1c2
	s_waitcnt vmcnt(10) lgkmcnt(1)
	v_mul_f32_e32 v4, v40, v20
	v_fma_f32 v4, v69, v19, -v4
	v_mul_f32_e32 v69, v69, v20
	v_fmac_f32_e32 v69, v40, v19
	s_waitcnt lgkmcnt(0)
	v_mul_f32_e32 v14, v90, v22
	s_waitcnt vmcnt(9)
	v_mul_f32_e32 v19, v41, v25
	v_fma_f32 v14, v67, v21, -v14
	v_mul_f32_e32 v88, v67, v22
	v_fma_f32 v82, v70, v24, -v19
	v_mul_f32_e32 v67, v70, v25
	v_mul_f32_e32 v19, v91, v27
	v_mul_f32_e32 v70, v68, v27
	v_fmac_f32_e32 v88, v90, v21
	v_fmac_f32_e32 v67, v41, v24
	v_fma_f32 v90, v68, v26, -v19
	v_fmac_f32_e32 v70, v91, v26
	global_load_dwordx4 v[24:27], v44, s[8:9] offset:16
	ds_read2_b32 v[20:21], v39 offset0:62 offset1:197
	ds_read2_b32 v[40:41], v76 offset0:40 offset1:175
	s_waitcnt vmcnt(9)
	v_mul_f32_e32 v100, v65, v32
	v_mul_f32_e32 v101, v63, v34
	s_waitcnt vmcnt(8)
	v_mul_f32_e32 v94, v66, v84
	s_waitcnt lgkmcnt(1)
	v_mul_f32_e32 v19, v20, v32
	v_fma_f32 v19, v65, v31, -v19
	v_fmac_f32_e32 v100, v20, v31
	ds_read2_b32 v[22:23], v23 offset0:56 offset1:191
	ds_read2_b32 v[31:32], v78 offset0:98 offset1:233
	s_waitcnt lgkmcnt(2)
	v_mul_f32_e32 v20, v40, v34
	v_fma_f32 v20, v63, v33, -v20
	v_fmac_f32_e32 v101, v40, v33
	v_mul_f32_e32 v33, v21, v84
	v_fmac_f32_e32 v94, v21, v83
	v_mul_f32_e32 v21, v41, v86
	v_fma_f32 v99, v64, v85, -v21
	s_waitcnt vmcnt(7) lgkmcnt(1)
	v_mul_f32_e32 v21, v22, v103
	v_fma_f32 v91, v61, v102, -v21
	s_waitcnt lgkmcnt(0)
	v_mul_f32_e32 v21, v31, v105
	v_fma_f32 v98, v66, v83, -v33
	v_fma_f32 v93, v59, v104, -v21
	v_mul_f32_e32 v83, v59, v105
	s_waitcnt vmcnt(6)
	v_mul_f32_e32 v59, v62, v107
	v_mul_f32_e32 v21, v23, v107
	v_fmac_f32_e32 v59, v23, v106
	v_mul_f32_e32 v23, v32, v109
	v_mul_f32_e32 v66, v61, v103
	v_fma_f32 v68, v60, v108, -v23
	v_mul_f32_e32 v60, v60, v109
	v_fmac_f32_e32 v66, v22, v102
	v_fmac_f32_e32 v83, v31, v104
	v_fma_f32 v63, v62, v106, -v21
	ds_read2_b32 v[21:22], v71 offset0:12 offset1:147
	v_fmac_f32_e32 v60, v32, v108
	ds_read2_b32 v[31:32], v43 offset0:54 offset1:189
	s_waitcnt vmcnt(5)
	v_mul_f32_e32 v87, v57, v111
	v_mul_f32_e32 v95, v64, v86
	s_waitcnt lgkmcnt(1)
	v_mul_f32_e32 v23, v21, v111
	v_fmac_f32_e32 v87, v21, v110
	s_waitcnt lgkmcnt(0)
	v_mul_f32_e32 v21, v31, v113
	v_fma_f32 v97, v55, v112, -v21
	s_waitcnt vmcnt(4)
	v_mul_f32_e32 v21, v22, v115
	v_fmac_f32_e32 v95, v41, v85
	v_mul_f32_e32 v92, v55, v113
	v_fma_f32 v85, v58, v114, -v21
	v_mul_f32_e32 v58, v58, v115
	v_mul_f32_e32 v65, v56, v117
	v_fma_f32 v96, v57, v110, -v23
	v_fmac_f32_e32 v92, v31, v112
	v_fmac_f32_e32 v58, v22, v114
	v_mul_f32_e32 v23, v32, v117
	ds_read2_b32 v[21:22], v72 offset0:70 offset1:205
	v_fmac_f32_e32 v65, v32, v116
	ds_read2_b32 v[31:32], v79 offset0:112 offset1:247
	s_waitcnt vmcnt(3)
	v_mul_f32_e32 v55, v53, v119
	v_fma_f32 v89, v56, v116, -v23
	s_waitcnt lgkmcnt(1)
	v_mul_f32_e32 v23, v21, v119
	v_fmac_f32_e32 v55, v21, v118
	s_waitcnt lgkmcnt(0)
	v_mul_f32_e32 v21, v31, v121
	v_fma_f32 v61, v53, v118, -v23
	v_fma_f32 v62, v51, v120, -v21
	s_waitcnt vmcnt(2)
	v_mul_f32_e32 v21, v22, v123
	v_mul_f32_e32 v23, v32, v125
	;; [unrolled: 1-line block ×3, first 2 shown]
	v_fma_f32 v53, v54, v122, -v21
	v_mul_f32_e32 v51, v54, v123
	v_fma_f32 v54, v52, v124, -v23
	v_mul_f32_e32 v52, v52, v125
	v_fmac_f32_e32 v56, v31, v120
	v_fmac_f32_e32 v51, v22, v122
	ds_read2_b32 v[21:22], v74 offset0:26 offset1:161
	v_fmac_f32_e32 v52, v32, v124
	ds_read2_b32 v[31:32], v80 offset0:68 offset1:203
	s_waitcnt vmcnt(1)
	v_mul_f32_e32 v57, v49, v127
	v_mul_f32_e32 v64, v47, v129
	s_waitcnt lgkmcnt(1)
	v_mul_f32_e32 v23, v21, v127
	v_fmac_f32_e32 v57, v21, v126
	s_waitcnt lgkmcnt(0)
	v_mul_f32_e32 v21, v31, v129
	v_fma_f32 v86, v47, v128, -v21
	s_waitcnt vmcnt(0)
	v_mul_f32_e32 v21, v22, v25
	v_fma_f32 v84, v49, v126, -v23
	v_fma_f32 v49, v50, v24, -v21
	v_mul_f32_e32 v47, v50, v25
	v_mul_f32_e32 v21, v32, v27
	v_fmac_f32_e32 v47, v22, v24
	v_fma_f32 v50, v48, v26, -v21
	v_sub_f32_e32 v21, v4, v14
	v_sub_f32_e32 v22, v20, v19
	v_mov_b32_e32 v44, 2
	v_add_f32_e32 v21, v21, v22
	v_lshlrev_b32_sdwa v22, v44, v28 dst_sel:DWORD dst_unused:UNUSED_PAD src0_sel:DWORD src1_sel:BYTE_0
	v_add3_u32 v106, 0, v11, v22
	v_add_f32_e32 v22, v14, v19
	v_fma_f32 v22, -0.5, v22, v45
	v_add_f32_e32 v11, v45, v4
	v_sub_f32_e32 v23, v69, v101
	v_mov_b32_e32 v28, v22
	v_fmac_f32_e32 v64, v31, v128
	v_add_f32_e32 v11, v11, v14
	v_fmac_f32_e32 v28, 0x3f737871, v23
	v_sub_f32_e32 v31, v88, v100
	v_add_f32_e32 v11, v11, v19
	v_fmac_f32_e32 v28, 0x3f167918, v31
	v_mul_f32_e32 v48, v48, v27
	v_add_f32_e32 v11, v11, v20
	v_fmac_f32_e32 v28, 0x3e9e377a, v21
	v_fmac_f32_e32 v48, v32, v26
	ds_read2_b32 v[104:105], v1 offset1:135
	ds_read2_b32 v[26:27], v73 offset0:14 offset1:149
	ds_read2_b32 v[24:25], v77 offset0:28 offset1:163
	s_waitcnt lgkmcnt(0)
	s_barrier
	ds_write2_b32 v106, v11, v28 offset1:10
	v_sub_f32_e32 v11, v14, v4
	v_sub_f32_e32 v28, v19, v20
	v_add_f32_e32 v11, v11, v28
	v_add_f32_e32 v28, v4, v20
	v_fma_f32 v28, -0.5, v28, v45
	v_mov_b32_e32 v32, v28
	v_fmac_f32_e32 v32, 0xbf737871, v31
	v_fmac_f32_e32 v28, 0x3f737871, v31
	;; [unrolled: 1-line block ×8, first 2 shown]
	v_add_f32_e32 v11, v90, v98
	v_fmac_f32_e32 v22, 0x3e9e377a, v21
	v_fma_f32 v11, -0.5, v11, v46
	v_add_f32_e32 v21, v46, v82
	v_add_f32_e32 v23, v82, v99
	v_add3_u32 v107, 0, v5, v6
	v_sub_f32_e32 v5, v82, v90
	v_sub_f32_e32 v6, v99, v98
	ds_write2_b32 v106, v32, v28 offset0:20 offset1:30
	v_fmac_f32_e32 v46, -0.5, v23
	v_sub_f32_e32 v23, v90, v82
	v_sub_f32_e32 v28, v98, v99
	v_sub_f32_e32 v32, v67, v95
	v_add_f32_e32 v5, v5, v6
	v_add_f32_e32 v6, v21, v90
	v_mov_b32_e32 v21, v11
	v_add_f32_e32 v23, v23, v28
	v_sub_f32_e32 v28, v70, v94
	v_fmac_f32_e32 v21, 0x3f737871, v32
	v_add_f32_e32 v6, v6, v98
	v_fmac_f32_e32 v21, 0x3f167918, v28
	v_fmac_f32_e32 v11, 0xbf737871, v32
	v_add_f32_e32 v6, v6, v99
	v_fmac_f32_e32 v21, 0x3e9e377a, v5
	v_fmac_f32_e32 v11, 0xbf167918, v28
	ds_write_b32 v106, v22 offset:160
	ds_write2_b32 v107, v6, v21 offset1:10
	v_fmac_f32_e32 v11, 0x3e9e377a, v5
	v_sub_f32_e32 v5, v91, v93
	v_sub_f32_e32 v6, v97, v96
	v_add_f32_e32 v5, v5, v6
	v_lshlrev_b32_e32 v6, 2, v10
	v_add3_u32 v108, 0, v7, v6
	v_add_f32_e32 v7, v93, v96
	v_fma_f32 v7, -0.5, v7, v29
	v_mov_b32_e32 v31, v46
	ds_write_b32 v107, v11 offset:160
	v_add_f32_e32 v6, v29, v91
	v_sub_f32_e32 v10, v66, v92
	v_mov_b32_e32 v11, v7
	v_fmac_f32_e32 v31, 0xbf737871, v28
	v_fmac_f32_e32 v46, 0x3f737871, v28
	v_add_f32_e32 v6, v6, v93
	v_fmac_f32_e32 v11, 0x3f737871, v10
	v_sub_f32_e32 v21, v83, v87
	v_fmac_f32_e32 v31, 0x3f167918, v32
	v_fmac_f32_e32 v46, 0xbf167918, v32
	v_add_f32_e32 v6, v6, v96
	v_fmac_f32_e32 v11, 0x3f167918, v21
	v_fmac_f32_e32 v31, 0x3e9e377a, v23
	v_fmac_f32_e32 v46, 0x3e9e377a, v23
	v_add_f32_e32 v6, v6, v97
	v_fmac_f32_e32 v11, 0x3e9e377a, v5
	ds_write2_b32 v107, v31, v46 offset0:20 offset1:30
	ds_write2_b32 v108, v6, v11 offset1:10
	v_sub_f32_e32 v6, v93, v91
	v_sub_f32_e32 v11, v96, v97
	v_add_f32_e32 v6, v6, v11
	v_add_f32_e32 v11, v91, v97
	v_fma_f32 v11, -0.5, v11, v29
	v_mov_b32_e32 v22, v11
	v_fmac_f32_e32 v22, 0xbf737871, v21
	v_fmac_f32_e32 v11, 0x3f737871, v21
	;; [unrolled: 1-line block ×9, first 2 shown]
	v_add_f32_e32 v5, v68, v85
	v_add_f32_e32 v10, v63, v89
	ds_write2_b32 v108, v22, v11 offset0:20 offset1:30
	v_fma_f32 v5, -0.5, v5, v30
	v_add_f32_e32 v6, v30, v63
	v_fmac_f32_e32 v30, -0.5, v10
	v_sub_f32_e32 v10, v68, v63
	v_sub_f32_e32 v11, v85, v89
	v_add_f32_e32 v10, v10, v11
	v_sub_f32_e32 v11, v60, v58
	v_mov_b32_e32 v21, v30
	v_fmac_f32_e32 v21, 0xbf737871, v11
	v_sub_f32_e32 v22, v59, v65
	v_fmac_f32_e32 v30, 0x3f737871, v11
	v_fmac_f32_e32 v21, 0x3f167918, v22
	;; [unrolled: 1-line block ×5, first 2 shown]
	ds_write_b32 v108, v7 offset:160
	v_lshlrev_b32_e32 v7, 2, v13
	v_mul_u32_u24_e32 v10, 0xc8, v12
	v_add3_u32 v102, 0, v10, v7
	v_sub_f32_e32 v7, v63, v68
	v_sub_f32_e32 v10, v89, v85
	v_add_f32_e32 v7, v7, v10
	v_mov_b32_e32 v10, v5
	v_add_f32_e32 v6, v6, v68
	v_fmac_f32_e32 v10, 0x3f737871, v22
	v_add_f32_e32 v6, v6, v85
	v_fmac_f32_e32 v10, 0x3f167918, v11
	v_fmac_f32_e32 v5, 0xbf737871, v22
	v_add_f32_e32 v6, v6, v89
	v_fmac_f32_e32 v10, 0x3e9e377a, v7
	v_fmac_f32_e32 v5, 0xbf167918, v11
	ds_write2_b32 v102, v6, v10 offset1:10
	v_fmac_f32_e32 v5, 0x3e9e377a, v7
	v_sub_f32_e32 v6, v61, v62
	v_sub_f32_e32 v7, v86, v84
	v_add_f32_e32 v6, v6, v7
	ds_write_b32 v102, v5 offset:160
	v_lshlrev_b32_e32 v5, 2, v18
	v_mul_u32_u24_e32 v7, 0xc8, v17
	v_add3_u32 v103, 0, v7, v5
	v_add_f32_e32 v7, v62, v84
	v_fma_f32 v7, -0.5, v7, v8
	v_add_f32_e32 v5, v8, v61
	v_sub_f32_e32 v10, v55, v64
	v_mov_b32_e32 v11, v7
	v_add_f32_e32 v5, v5, v62
	v_fmac_f32_e32 v11, 0x3f737871, v10
	v_sub_f32_e32 v12, v56, v57
	v_add_f32_e32 v5, v5, v84
	v_fmac_f32_e32 v11, 0x3f167918, v12
	v_add_f32_e32 v5, v5, v86
	v_fmac_f32_e32 v11, 0x3e9e377a, v6
	ds_write2_b32 v102, v21, v30 offset0:20 offset1:30
	ds_write2_b32 v103, v5, v11 offset1:10
	v_sub_f32_e32 v5, v62, v61
	v_sub_f32_e32 v11, v84, v86
	v_add_f32_e32 v5, v5, v11
	v_add_f32_e32 v11, v61, v86
	v_fma_f32 v8, -0.5, v11, v8
	v_mov_b32_e32 v11, v8
	v_fmac_f32_e32 v11, 0xbf737871, v12
	v_fmac_f32_e32 v8, 0x3f737871, v12
	;; [unrolled: 1-line block ×7, first 2 shown]
	ds_write2_b32 v103, v11, v8 offset0:20 offset1:30
	v_fmac_f32_e32 v7, 0xbf167918, v12
	v_add_f32_e32 v5, v54, v49
	v_add_f32_e32 v8, v53, v50
	v_fmac_f32_e32 v7, 0x3e9e377a, v6
	v_fma_f32 v5, -0.5, v5, v9
	v_add_f32_e32 v6, v9, v53
	v_fmac_f32_e32 v9, -0.5, v8
	v_sub_f32_e32 v8, v54, v53
	v_sub_f32_e32 v10, v49, v50
	v_add_f32_e32 v8, v8, v10
	v_sub_f32_e32 v10, v52, v47
	v_mov_b32_e32 v11, v9
	v_fmac_f32_e32 v11, 0xbf737871, v10
	v_sub_f32_e32 v12, v51, v48
	v_fmac_f32_e32 v9, 0x3f737871, v10
	v_fmac_f32_e32 v11, 0x3f167918, v12
	;; [unrolled: 1-line block ×5, first 2 shown]
	ds_write_b32 v103, v7 offset:160
	v_lshlrev_b32_e32 v7, 2, v16
	v_mul_u32_u24_e32 v8, 0xc8, v15
	v_add3_u32 v109, 0, v8, v7
	v_sub_f32_e32 v7, v53, v54
	v_sub_f32_e32 v8, v50, v49
	v_add_f32_e32 v7, v7, v8
	v_mov_b32_e32 v8, v5
	v_add_f32_e32 v6, v6, v54
	v_fmac_f32_e32 v8, 0x3f737871, v12
	v_add_f32_e32 v6, v6, v49
	v_fmac_f32_e32 v8, 0x3f167918, v10
	;; [unrolled: 2-line block ×3, first 2 shown]
	ds_write2_b32 v109, v6, v8 offset1:10
	v_sub_f32_e32 v110, v4, v20
	v_sub_f32_e32 v4, v69, v88
	;; [unrolled: 1-line block ×3, first 2 shown]
	v_add_f32_e32 v112, v4, v6
	v_add_f32_e32 v4, v104, v69
	;; [unrolled: 1-line block ×6, first 2 shown]
	v_sub_f32_e32 v88, v88, v69
	v_add_f32_e32 v69, v69, v101
	v_sub_f32_e32 v100, v100, v101
	v_fma_f32 v69, -0.5, v69, v104
	v_sub_f32_e32 v111, v14, v19
	v_add_f32_e32 v88, v88, v100
	v_mov_b32_e32 v100, v69
	v_fmac_f32_e32 v5, 0xbf737871, v12
	v_fmac_f32_e32 v100, 0x3f737871, v111
	;; [unrolled: 1-line block ×7, first 2 shown]
	v_lshl_add_u32 v40, v0, 2, 0
	v_fmac_f32_e32 v100, 0x3e9e377a, v88
	v_fmac_f32_e32 v69, 0x3e9e377a, v88
	ds_write2_b32 v109, v11, v9 offset0:20 offset1:30
	ds_write_b32 v109, v5 offset:160
	v_fma_f32 v114, -0.5, v4, v104
	s_waitcnt lgkmcnt(0)
	s_barrier
	v_add_u32_e32 v41, 0xe00, v40
	ds_read_b32 v46, v1 offset:3240
	ds_read_b32 v45, v40 offset:4860
	ds_read2_b32 v[10:11], v1 offset1:135
	ds_read2_b32 v[34:35], v72 offset0:70 offset1:205
	ds_read2_b32 v[32:33], v71 offset0:12 offset1:147
	;; [unrolled: 1-line block ×13, first 2 shown]
	s_waitcnt lgkmcnt(0)
	s_barrier
	ds_write2_b32 v106, v100, v69 offset0:20 offset1:30
	v_sub_f32_e32 v69, v82, v99
	v_sub_f32_e32 v82, v90, v98
	v_add_f32_e32 v90, v105, v67
	v_add_f32_e32 v88, v70, v94
	;; [unrolled: 1-line block ×4, first 2 shown]
	v_fma_f32 v88, -0.5, v88, v105
	v_fmac_f32_e32 v105, -0.5, v98
	v_sub_f32_e32 v98, v70, v67
	v_sub_f32_e32 v67, v67, v70
	v_add_f32_e32 v70, v90, v94
	v_sub_f32_e32 v90, v95, v94
	v_mov_b32_e32 v115, v114
	v_add_f32_e32 v67, v67, v90
	v_mov_b32_e32 v90, v88
	v_fmac_f32_e32 v115, 0xbf737871, v110
	v_fmac_f32_e32 v114, 0x3f737871, v110
	;; [unrolled: 1-line block ×5, first 2 shown]
	v_sub_f32_e32 v99, v94, v95
	v_fmac_f32_e32 v90, 0xbf167918, v82
	v_fmac_f32_e32 v115, 0x3e9e377a, v112
	v_fmac_f32_e32 v114, 0x3e9e377a, v112
	v_add_f32_e32 v98, v98, v99
	v_mov_b32_e32 v99, v105
	v_add_f32_e32 v70, v70, v95
	v_fmac_f32_e32 v90, 0x3e9e377a, v67
	v_fmac_f32_e32 v88, 0x3f737871, v69
	ds_write2_b32 v106, v113, v115 offset1:10
	ds_write_b32 v106, v114 offset:160
	v_fmac_f32_e32 v99, 0x3f737871, v82
	v_fmac_f32_e32 v105, 0xbf737871, v82
	ds_write2_b32 v107, v70, v90 offset1:10
	v_fmac_f32_e32 v88, 0x3f167918, v82
	v_sub_f32_e32 v70, v66, v83
	v_sub_f32_e32 v82, v92, v87
	v_add_f32_e32 v70, v70, v82
	v_add_f32_e32 v82, v83, v87
	v_fmac_f32_e32 v88, 0x3e9e377a, v67
	v_fma_f32 v82, -0.5, v82, v26
	ds_write_b32 v107, v88 offset:160
	v_sub_f32_e32 v67, v91, v97
	v_mov_b32_e32 v88, v82
	v_fmac_f32_e32 v99, 0xbf167918, v69
	v_fmac_f32_e32 v105, 0x3f167918, v69
	v_sub_f32_e32 v69, v93, v96
	v_fmac_f32_e32 v88, 0xbf737871, v67
	v_fmac_f32_e32 v82, 0x3f737871, v67
	;; [unrolled: 1-line block ×6, first 2 shown]
	v_add_f32_e32 v70, v26, v66
	v_add_f32_e32 v70, v70, v83
	v_sub_f32_e32 v83, v83, v66
	v_add_f32_e32 v66, v66, v92
	v_fma_f32 v26, -0.5, v66, v26
	v_mov_b32_e32 v66, v26
	v_fmac_f32_e32 v66, 0x3f737871, v69
	v_fmac_f32_e32 v26, 0xbf737871, v69
	;; [unrolled: 1-line block ×4, first 2 shown]
	v_sub_f32_e32 v67, v68, v85
	v_sub_f32_e32 v68, v59, v60
	;; [unrolled: 1-line block ×3, first 2 shown]
	v_add_f32_e32 v70, v70, v87
	v_sub_f32_e32 v87, v87, v92
	v_add_f32_e32 v68, v68, v69
	v_add_f32_e32 v69, v60, v58
	;; [unrolled: 1-line block ×3, first 2 shown]
	v_fma_f32 v69, -0.5, v69, v27
	v_fmac_f32_e32 v66, 0x3e9e377a, v83
	v_fmac_f32_e32 v26, 0x3e9e377a, v83
	v_sub_f32_e32 v63, v63, v89
	v_mov_b32_e32 v83, v69
	v_fmac_f32_e32 v83, 0xbf737871, v63
	v_fmac_f32_e32 v69, 0x3f737871, v63
	;; [unrolled: 1-line block ×6, first 2 shown]
	v_add_f32_e32 v68, v27, v59
	v_add_f32_e32 v85, v59, v65
	;; [unrolled: 1-line block ×3, first 2 shown]
	v_fmac_f32_e32 v27, -0.5, v85
	v_sub_f32_e32 v59, v60, v59
	v_add_f32_e32 v60, v68, v58
	v_sub_f32_e32 v58, v58, v65
	v_add_f32_e32 v58, v59, v58
	v_mov_b32_e32 v59, v27
	v_fmac_f32_e32 v59, 0x3f737871, v67
	v_fmac_f32_e32 v27, 0xbf737871, v67
	;; [unrolled: 1-line block ×6, first 2 shown]
	v_sub_f32_e32 v58, v61, v86
	v_sub_f32_e32 v61, v62, v84
	v_sub_f32_e32 v62, v55, v56
	v_sub_f32_e32 v63, v64, v57
	v_add_f32_e32 v62, v62, v63
	v_add_f32_e32 v63, v56, v57
	v_fma_f32 v63, -0.5, v63, v24
	v_add_f32_e32 v60, v60, v65
	v_mov_b32_e32 v65, v63
	v_fmac_f32_e32 v65, 0xbf737871, v58
	v_fmac_f32_e32 v63, 0x3f737871, v58
	;; [unrolled: 1-line block ×6, first 2 shown]
	v_add_f32_e32 v62, v24, v55
	v_add_f32_e32 v62, v62, v56
	v_sub_f32_e32 v56, v56, v55
	v_add_f32_e32 v55, v55, v64
	v_fma_f32 v24, -0.5, v55, v24
	v_mov_b32_e32 v55, v24
	v_sub_f32_e32 v50, v53, v50
	v_sub_f32_e32 v49, v54, v49
	v_sub_f32_e32 v53, v51, v52
	v_sub_f32_e32 v54, v48, v47
	v_add_f32_e32 v62, v62, v57
	v_sub_f32_e32 v57, v57, v64
	v_fmac_f32_e32 v55, 0x3f737871, v61
	v_fmac_f32_e32 v24, 0xbf737871, v61
	v_add_f32_e32 v53, v53, v54
	v_add_f32_e32 v54, v52, v47
	;; [unrolled: 1-line block ×3, first 2 shown]
	v_fmac_f32_e32 v55, 0xbf167918, v58
	v_fmac_f32_e32 v24, 0x3f167918, v58
	v_fma_f32 v54, -0.5, v54, v25
	v_fmac_f32_e32 v55, 0x3e9e377a, v56
	v_fmac_f32_e32 v24, 0x3e9e377a, v56
	v_mov_b32_e32 v56, v54
	v_fmac_f32_e32 v56, 0xbf737871, v50
	v_fmac_f32_e32 v54, 0x3f737871, v50
	;; [unrolled: 1-line block ×6, first 2 shown]
	v_add_f32_e32 v53, v25, v51
	v_add_f32_e32 v57, v51, v48
	;; [unrolled: 1-line block ×3, first 2 shown]
	v_fmac_f32_e32 v25, -0.5, v57
	v_sub_f32_e32 v51, v52, v51
	v_add_f32_e32 v52, v53, v47
	v_add_f32_e32 v52, v52, v48
	v_sub_f32_e32 v47, v47, v48
	v_mov_b32_e32 v48, v25
	v_fmac_f32_e32 v48, 0x3f737871, v49
	v_fmac_f32_e32 v25, 0xbf737871, v49
	;; [unrolled: 1-line block ×4, first 2 shown]
	v_add_f32_e32 v70, v70, v92
	v_add_f32_e32 v47, v51, v47
	v_fmac_f32_e32 v48, 0xbf167918, v50
	v_fmac_f32_e32 v25, 0x3f167918, v50
	ds_write2_b32 v107, v99, v105 offset0:20 offset1:30
	v_add_f32_e32 v62, v62, v64
	v_fmac_f32_e32 v48, 0x3e9e377a, v47
	v_fmac_f32_e32 v25, 0x3e9e377a, v47
	ds_write2_b32 v108, v70, v88 offset1:10
	ds_write2_b32 v108, v66, v26 offset0:20 offset1:30
	ds_write_b32 v108, v82 offset:160
	ds_write2_b32 v102, v60, v83 offset1:10
	ds_write2_b32 v102, v59, v27 offset0:20 offset1:30
	ds_write_b32 v102, v69 offset:160
	;; [unrolled: 3-line block ×4, first 2 shown]
	v_mov_b32_e32 v24, 41
	v_mul_lo_u16_sdwa v24, v0, v24 dst_sel:DWORD dst_unused:UNUSED_PAD src0_sel:BYTE_0 src1_sel:DWORD
	v_lshrrev_b16_e32 v66, 11, v24
	v_mul_lo_u16_e32 v24, 50, v66
	v_sub_u16_e32 v67, v0, v24
	v_mov_b32_e32 v24, 4
	v_lshlrev_b32_sdwa v24, v24, v67 dst_sel:DWORD dst_unused:UNUSED_PAD src0_sel:DWORD src1_sel:BYTE_0
	s_waitcnt lgkmcnt(0)
	s_barrier
	global_load_dwordx4 v[48:51], v24, s[8:9] offset:320
	v_lshrrev_b16_e32 v24, 1, v38
	v_mul_u32_u24_e32 v24, 0x147b, v24
	v_lshrrev_b32_e32 v24, 17, v24
	v_mul_lo_u16_e32 v25, 50, v24
	v_sub_u16_e32 v25, v38, v25
	v_lshlrev_b32_e32 v26, 4, v25
	v_lshrrev_b16_e32 v27, 1, v37
	global_load_dwordx4 v[52:55], v26, s[8:9] offset:320
	v_mul_u32_u24_e32 v26, 0x147b, v27
	v_lshrrev_b32_e32 v70, 17, v26
	v_mul_lo_u16_e32 v26, 50, v70
	v_sub_u16_e32 v84, v37, v26
	v_lshlrev_b32_e32 v26, 4, v84
	global_load_dwordx4 v[90:93], v26, s[8:9] offset:320
	v_lshrrev_b16_e32 v26, 1, v81
	v_mul_u32_u24_e32 v47, 0x147b, v26
	v_lshrrev_b32_e32 v82, 17, v47
	v_mul_lo_u16_e32 v47, 50, v82
	v_sub_u16_e32 v85, v81, v47
	v_lshlrev_b32_e32 v47, 4, v85
	global_load_dwordx4 v[94:97], v47, s[8:9] offset:320
	v_lshrrev_b16_e32 v47, 1, v42
	v_mul_u32_u24_e32 v56, 0x147b, v47
	v_lshrrev_b32_e32 v88, 17, v56
	v_mul_lo_u16_e32 v56, 50, v88
	v_sub_u16_e32 v89, v42, v56
	v_lshlrev_b32_e32 v56, 4, v89
	global_load_dwordx4 v[98:101], v56, s[8:9] offset:320
	ds_read2_b32 v[56:57], v72 offset0:70 offset1:205
	ds_read2_b32 v[58:59], v71 offset0:12 offset1:147
	v_mul_u32_u24_e32 v27, 0xda75, v27
	v_lshrrev_b32_e32 v27, 22, v27
	v_mul_u32_u24_e32 v26, 0xda75, v26
	v_lshrrev_b32_e32 v26, 22, v26
	v_mul_u32_u24_e32 v47, 0xda75, v47
	s_waitcnt vmcnt(4) lgkmcnt(1)
	v_mul_f32_e32 v60, v56, v49
	v_fma_f32 v68, v34, v48, -v60
	v_mul_f32_e32 v69, v34, v49
	s_waitcnt lgkmcnt(0)
	v_mul_f32_e32 v34, v58, v51
	v_fma_f32 v83, v32, v50, -v34
	v_mul_f32_e32 v86, v32, v51
	v_fmac_f32_e32 v69, v56, v48
	v_fmac_f32_e32 v86, v58, v50
	s_waitcnt vmcnt(3)
	v_mul_f32_e32 v32, v57, v53
	v_fma_f32 v48, v35, v52, -v32
	v_mul_f32_e32 v51, v35, v53
	v_mul_f32_e32 v32, v59, v55
	ds_read2_b32 v[34:35], v75 offset0:84 offset1:219
	v_fma_f32 v58, v33, v54, -v32
	v_mul_f32_e32 v62, v33, v55
	ds_read2_b32 v[32:33], v74 offset0:26 offset1:161
	s_waitcnt vmcnt(2)
	v_mul_f32_e32 v56, v30, v91
	s_waitcnt lgkmcnt(1)
	v_mul_f32_e32 v49, v34, v91
	v_fma_f32 v49, v30, v90, -v49
	v_fmac_f32_e32 v62, v59, v54
	s_waitcnt lgkmcnt(0)
	v_mul_f32_e32 v30, v32, v93
	v_fma_f32 v59, v28, v92, -v30
	s_waitcnt vmcnt(1)
	v_mul_f32_e32 v30, v33, v97
	v_fmac_f32_e32 v51, v57, v52
	v_mul_f32_e32 v50, v31, v95
	v_fma_f32 v57, v29, v96, -v30
	v_mul_f32_e32 v60, v29, v97
	v_lshrrev_b16_e32 v29, 1, v36
	v_fmac_f32_e32 v56, v34, v90
	v_mul_f32_e32 v61, v28, v93
	v_mul_f32_e32 v28, v35, v95
	v_fmac_f32_e32 v50, v35, v94
	ds_read2_b32 v[34:35], v78 offset0:98 offset1:233
	v_mul_u32_u24_e32 v30, 0x147b, v29
	v_fmac_f32_e32 v61, v32, v92
	v_fmac_f32_e32 v60, v33, v96
	v_lshrrev_b32_e32 v110, 17, v30
	ds_read2_b32 v[32:33], v76 offset0:40 offset1:175
	v_mul_lo_u16_e32 v30, 50, v110
	v_sub_u16_e32 v111, v36, v30
	v_lshlrev_b32_e32 v30, 4, v111
	global_load_dwordx4 v[90:93], v30, s[8:9] offset:320
	s_waitcnt vmcnt(1) lgkmcnt(1)
	v_mul_f32_e32 v30, v34, v99
	v_add_u32_e32 v52, 0x32a, v0
	v_mul_f32_e32 v87, v20, v101
	v_add_u32_e32 v54, 0x438, v0
	v_fma_f32 v63, v22, v98, -v30
	v_mul_f32_e32 v64, v22, v99
	s_waitcnt lgkmcnt(0)
	v_mul_f32_e32 v22, v32, v101
	v_lshrrev_b16_e32 v30, 1, v52
	v_fmac_f32_e32 v87, v32, v100
	v_lshrrev_b16_e32 v32, 1, v54
	v_fma_f32 v65, v20, v100, -v22
	v_mul_u32_u24_e32 v22, 0x147b, v30
	v_mul_u32_u24_e32 v20, 0x147b, v32
	v_lshrrev_b32_e32 v112, 17, v22
	v_lshrrev_b32_e32 v116, 17, v20
	v_mul_lo_u16_e32 v22, 50, v112
	v_mul_lo_u16_e32 v20, 50, v116
	v_sub_u16_e32 v113, v52, v22
	v_add_u32_e32 v53, 0x3b1, v0
	v_sub_u16_e32 v117, v54, v20
	v_fma_f32 v28, v31, v94, -v28
	v_lshlrev_b32_e32 v22, 4, v113
	v_lshrrev_b16_e32 v31, 1, v53
	v_lshlrev_b32_e32 v20, 4, v117
	v_fmac_f32_e32 v64, v34, v98
	global_load_dwordx4 v[94:97], v22, s[8:9] offset:320
	global_load_dwordx4 v[98:101], v20, s[8:9] offset:320
	v_mul_u32_u24_e32 v22, 0x147b, v31
	v_lshrrev_b32_e32 v114, 17, v22
	v_mul_lo_u16_e32 v22, 50, v114
	v_sub_u16_e32 v115, v53, v22
	v_lshlrev_b32_e32 v22, 4, v115
	global_load_dwordx4 v[102:105], v22, s[8:9] offset:320
	v_add_u32_e32 v55, 0x4bf, v0
	v_lshrrev_b16_e32 v34, 1, v55
	v_mul_u32_u24_e32 v20, 0x147b, v34
	v_lshrrev_b32_e32 v118, 17, v20
	v_mul_lo_u16_e32 v20, 50, v118
	v_sub_u16_e32 v119, v55, v20
	v_lshlrev_b32_e32 v20, 4, v119
	global_load_dwordx4 v[106:109], v20, s[8:9] offset:320
	v_mul_u32_u24_e32 v29, 0xda75, v29
	v_mul_u32_u24_e32 v30, 0xda75, v30
	;; [unrolled: 1-line block ×3, first 2 shown]
	v_lshrrev_b32_e32 v34, 22, v34
	v_mul_lo_u16_e32 v34, 0x96, v34
	v_sub_u16_e32 v34, v55, v34
	s_waitcnt vmcnt(4)
	v_mul_f32_e32 v20, v35, v91
	v_fma_f32 v120, v23, v90, -v20
	v_mul_f32_e32 v121, v23, v91
	v_mul_f32_e32 v20, v33, v93
	ds_read2_b32 v[22:23], v79 offset0:112 offset1:247
	v_fma_f32 v122, v21, v92, -v20
	v_mul_f32_e32 v123, v21, v93
	ds_read2_b32 v[20:21], v43 offset0:54 offset1:189
	v_fmac_f32_e32 v123, v33, v92
	v_fmac_f32_e32 v121, v35, v90
	s_waitcnt vmcnt(3) lgkmcnt(1)
	v_mul_f32_e32 v33, v22, v95
	v_fma_f32 v124, v18, v94, -v33
	v_mul_f32_e32 v125, v18, v95
	s_waitcnt lgkmcnt(0)
	v_mul_f32_e32 v18, v20, v97
	v_fma_f32 v126, v16, v96, -v18
	v_mul_f32_e32 v97, v16, v97
	v_fmac_f32_e32 v97, v20, v96
	s_waitcnt vmcnt(1)
	v_mul_f32_e32 v16, v23, v103
	v_fma_f32 v96, v19, v102, -v16
	v_mul_f32_e32 v127, v19, v103
	v_mul_f32_e32 v16, v21, v105
	ds_read2_b32 v[18:19], v39 offset0:62 offset1:197
	v_fma_f32 v128, v17, v104, -v16
	v_mul_f32_e32 v129, v17, v105
	ds_read2_b32 v[16:17], v80 offset0:68 offset1:203
	v_mul_f32_e32 v131, v14, v99
	s_waitcnt lgkmcnt(1)
	v_mul_f32_e32 v20, v18, v99
	v_fma_f32 v130, v14, v98, -v20
	v_mul_f32_e32 v133, v12, v101
	s_waitcnt lgkmcnt(0)
	v_mul_f32_e32 v14, v16, v101
	v_fma_f32 v132, v12, v100, -v14
	s_waitcnt vmcnt(0)
	v_mul_f32_e32 v12, v19, v107
	v_fma_f32 v134, v15, v106, -v12
	v_mul_f32_e32 v107, v15, v107
	v_mul_f32_e32 v12, v17, v109
	v_fmac_f32_e32 v107, v19, v106
	v_fma_f32 v106, v13, v108, -v12
	v_mul_f32_e32 v109, v13, v109
	v_lshlrev_b32_sdwa v12, v44, v67 dst_sel:DWORD dst_unused:UNUSED_PAD src0_sel:DWORD src1_sel:BYTE_0
	v_mul_u32_u24_e32 v13, 0x258, v66
	v_add3_u32 v44, 0, v13, v12
	v_add_f32_e32 v13, v68, v83
	v_add_f32_e32 v12, v10, v68
	v_fma_f32 v10, -0.5, v13, v10
	v_sub_f32_e32 v13, v69, v86
	v_mov_b32_e32 v14, v10
	v_add_f32_e32 v12, v12, v83
	v_fmac_f32_e32 v14, 0x3f5db3d7, v13
	v_fmac_f32_e32 v10, 0xbf5db3d7, v13
	v_add_f32_e32 v13, v48, v58
	v_fmac_f32_e32 v125, v22, v94
	v_fmac_f32_e32 v109, v17, v108
	ds_read_b32 v108, v1 offset:3240
	ds_read_b32 v135, v40 offset:4860
	ds_read2_b32 v[66:67], v1 offset1:135
	ds_read2_b32 v[90:91], v73 offset0:14 offset1:149
	ds_read2_b32 v[92:93], v77 offset0:28 offset1:163
	;; [unrolled: 1-line block ×3, first 2 shown]
	s_waitcnt lgkmcnt(0)
	s_barrier
	ds_write2_b32 v44, v12, v14 offset1:50
	v_add_f32_e32 v12, v11, v48
	v_fmac_f32_e32 v11, -0.5, v13
	ds_write_b32 v44, v10 offset:400
	v_mul_u32_u24_e32 v10, 0x258, v24
	v_lshlrev_b32_e32 v13, 2, v25
	v_add3_u32 v136, 0, v10, v13
	v_add_f32_e32 v10, v12, v58
	v_sub_f32_e32 v12, v51, v62
	v_mov_b32_e32 v13, v11
	v_fmac_f32_e32 v13, 0x3f5db3d7, v12
	v_fmac_f32_e32 v11, 0xbf5db3d7, v12
	ds_write2_b32 v136, v10, v13 offset1:50
	ds_write_b32 v136, v11 offset:400
	v_mul_u32_u24_e32 v10, 0x258, v70
	v_lshlrev_b32_e32 v11, 2, v84
	v_add3_u32 v70, 0, v10, v11
	v_add_f32_e32 v11, v49, v59
	v_add_f32_e32 v10, v8, v49
	v_fma_f32 v8, -0.5, v11, v8
	v_sub_f32_e32 v11, v56, v61
	v_mov_b32_e32 v12, v8
	v_add_f32_e32 v10, v10, v59
	v_fmac_f32_e32 v12, 0x3f5db3d7, v11
	v_fmac_f32_e32 v8, 0xbf5db3d7, v11
	v_add_f32_e32 v11, v28, v57
	ds_write2_b32 v70, v10, v12 offset1:50
	v_add_f32_e32 v10, v9, v28
	v_fmac_f32_e32 v9, -0.5, v11
	ds_write_b32 v70, v8 offset:400
	v_mul_u32_u24_e32 v8, 0x258, v82
	v_lshlrev_b32_e32 v11, 2, v85
	v_add3_u32 v82, 0, v8, v11
	v_add_f32_e32 v8, v10, v57
	v_sub_f32_e32 v10, v50, v60
	v_mov_b32_e32 v11, v9
	v_fmac_f32_e32 v11, 0x3f5db3d7, v10
	v_fmac_f32_e32 v9, 0xbf5db3d7, v10
	ds_write2_b32 v82, v8, v11 offset1:50
	ds_write_b32 v82, v9 offset:400
	v_mul_u32_u24_e32 v8, 0x258, v88
	v_lshlrev_b32_e32 v9, 2, v89
	v_add3_u32 v84, 0, v8, v9
	v_add_f32_e32 v9, v63, v65
	v_add_f32_e32 v8, v6, v63
	v_fma_f32 v6, -0.5, v9, v6
	v_sub_f32_e32 v9, v64, v87
	v_mov_b32_e32 v10, v6
	v_add_f32_e32 v8, v8, v65
	v_fmac_f32_e32 v10, 0x3f5db3d7, v9
	v_fmac_f32_e32 v6, 0xbf5db3d7, v9
	v_add_f32_e32 v9, v120, v122
	ds_write2_b32 v84, v8, v10 offset1:50
	v_add_f32_e32 v8, v7, v120
	v_fmac_f32_e32 v7, -0.5, v9
	ds_write_b32 v84, v6 offset:400
	v_mul_u32_u24_e32 v6, 0x258, v110
	v_lshlrev_b32_e32 v9, 2, v111
	v_add3_u32 v6, 0, v6, v9
	v_sub_f32_e32 v9, v121, v123
	v_mov_b32_e32 v10, v7
	v_add_f32_e32 v8, v8, v122
	v_fmac_f32_e32 v10, 0x3f5db3d7, v9
	ds_write2_b32 v6, v8, v10 offset1:50
	v_fmac_f32_e32 v7, 0xbf5db3d7, v9
	v_add_f32_e32 v8, v124, v126
	ds_write_b32 v6, v7 offset:400
	v_add_f32_e32 v7, v46, v124
	v_fmac_f32_e32 v46, -0.5, v8
	v_mul_u32_u24_e32 v8, 0x258, v112
	v_lshlrev_b32_e32 v9, 2, v113
	v_add3_u32 v85, 0, v8, v9
	v_sub_f32_e32 v8, v125, v97
	v_mov_b32_e32 v9, v46
	v_add_f32_e32 v7, v7, v126
	v_fmac_f32_e32 v9, 0x3f5db3d7, v8
	ds_write2_b32 v85, v7, v9 offset1:50
	v_fmac_f32_e32 v46, 0xbf5db3d7, v8
	v_mul_u32_u24_e32 v7, 0x258, v114
	v_lshlrev_b32_e32 v8, 2, v115
	v_add_f32_e32 v9, v96, v128
	v_fmac_f32_e32 v127, v23, v102
	v_fmac_f32_e32 v129, v21, v104
	v_add3_u32 v7, 0, v7, v8
	v_add_f32_e32 v8, v4, v96
	v_fma_f32 v4, -0.5, v9, v4
	v_sub_f32_e32 v9, v127, v129
	v_mov_b32_e32 v10, v4
	v_add_f32_e32 v8, v8, v128
	v_fmac_f32_e32 v10, 0x3f5db3d7, v9
	v_fmac_f32_e32 v4, 0xbf5db3d7, v9
	v_add_f32_e32 v9, v130, v132
	v_fmac_f32_e32 v131, v18, v98
	v_fmac_f32_e32 v133, v16, v100
	ds_write_b32 v85, v46 offset:400
	ds_write2_b32 v7, v8, v10 offset1:50
	v_add_f32_e32 v8, v5, v130
	v_fmac_f32_e32 v5, -0.5, v9
	ds_write_b32 v7, v4 offset:400
	v_mul_u32_u24_e32 v4, 0x258, v116
	v_lshlrev_b32_e32 v9, 2, v117
	v_add3_u32 v4, 0, v4, v9
	v_sub_f32_e32 v9, v131, v133
	v_mov_b32_e32 v10, v5
	v_add_f32_e32 v8, v8, v132
	v_fmac_f32_e32 v10, 0x3f5db3d7, v9
	ds_write2_b32 v4, v8, v10 offset1:50
	v_fmac_f32_e32 v5, 0xbf5db3d7, v9
	v_add_f32_e32 v8, v134, v106
	ds_write_b32 v4, v5 offset:400
	v_add_f32_e32 v5, v45, v134
	v_fmac_f32_e32 v45, -0.5, v8
	v_mul_u32_u24_e32 v8, 0x258, v118
	v_lshlrev_b32_e32 v9, 2, v119
	v_add3_u32 v46, 0, v8, v9
	v_sub_f32_e32 v8, v107, v109
	v_mov_b32_e32 v9, v45
	v_add_f32_e32 v5, v5, v106
	v_fmac_f32_e32 v9, 0x3f5db3d7, v8
	ds_write2_b32 v46, v5, v9 offset1:50
	v_add_f32_e32 v9, v69, v86
	v_fmac_f32_e32 v45, 0xbf5db3d7, v8
	ds_write_b32 v46, v45 offset:400
	v_fma_f32 v45, -0.5, v9, v66
	v_add_f32_e32 v5, v66, v69
	v_sub_f32_e32 v83, v68, v83
	v_mov_b32_e32 v66, v45
	v_add_f32_e32 v5, v5, v86
	v_fmac_f32_e32 v66, 0xbf5db3d7, v83
	v_fmac_f32_e32 v45, 0x3f5db3d7, v83
	s_waitcnt lgkmcnt(0)
	s_barrier
	ds_read_b32 v35, v1 offset:3240
	ds_read_b32 v33, v40 offset:4860
	ds_read2_b32 v[14:15], v1 offset1:135
	ds_read2_b32 v[68:69], v72 offset0:70 offset1:205
	ds_read2_b32 v[98:99], v71 offset0:12 offset1:147
	ds_read2_b32 v[12:13], v73 offset0:14 offset1:149
	ds_read2_b32 v[100:101], v75 offset0:84 offset1:219
	ds_read2_b32 v[102:103], v74 offset0:26 offset1:161
	ds_read2_b32 v[10:11], v77 offset0:28 offset1:163
	ds_read2_b32 v[104:105], v78 offset0:98 offset1:233
	ds_read2_b32 v[24:25], v76 offset0:40 offset1:175
	ds_read2_b32 v[22:23], v79 offset0:112 offset1:247
	ds_read2_b32 v[20:21], v43 offset0:54 offset1:189
	ds_read2_b32 v[8:9], v41 offset0:49 offset1:184
	ds_read2_b32 v[18:19], v39 offset0:62 offset1:197
	ds_read2_b32 v[16:17], v80 offset0:68 offset1:203
	s_waitcnt lgkmcnt(0)
	s_barrier
	ds_write2_b32 v44, v5, v66 offset1:50
	ds_write_b32 v44, v45 offset:400
	v_add_f32_e32 v44, v51, v62
	v_add_f32_e32 v5, v67, v51
	v_fmac_f32_e32 v67, -0.5, v44
	v_sub_f32_e32 v44, v48, v58
	v_mov_b32_e32 v45, v67
	v_add_f32_e32 v5, v5, v62
	v_fmac_f32_e32 v45, 0xbf5db3d7, v44
	v_fmac_f32_e32 v67, 0x3f5db3d7, v44
	v_add_f32_e32 v44, v56, v61
	ds_write2_b32 v136, v5, v45 offset1:50
	v_sub_f32_e32 v45, v49, v59
	v_fma_f32 v44, -0.5, v44, v90
	v_add_f32_e32 v5, v90, v56
	v_mov_b32_e32 v48, v44
	v_fmac_f32_e32 v44, 0x3f5db3d7, v45
	ds_write_b32 v136, v67 offset:400
	v_add_f32_e32 v5, v5, v61
	v_fmac_f32_e32 v48, 0xbf5db3d7, v45
	ds_write_b32 v70, v44 offset:400
	v_add_f32_e32 v44, v50, v60
	ds_write2_b32 v70, v5, v48 offset1:50
	v_add_f32_e32 v5, v91, v50
	v_fmac_f32_e32 v91, -0.5, v44
	v_sub_f32_e32 v28, v28, v57
	v_mov_b32_e32 v44, v91
	v_add_f32_e32 v5, v5, v60
	v_fmac_f32_e32 v44, 0xbf5db3d7, v28
	v_fmac_f32_e32 v91, 0x3f5db3d7, v28
	v_add_f32_e32 v28, v64, v87
	ds_write2_b32 v82, v5, v44 offset1:50
	v_sub_f32_e32 v44, v63, v65
	v_fma_f32 v28, -0.5, v28, v92
	v_add_f32_e32 v5, v92, v64
	v_mov_b32_e32 v45, v28
	v_fmac_f32_e32 v28, 0x3f5db3d7, v44
	ds_write_b32 v82, v91 offset:400
	v_add_f32_e32 v5, v5, v87
	v_fmac_f32_e32 v45, 0xbf5db3d7, v44
	ds_write_b32 v84, v28 offset:400
	v_add_f32_e32 v28, v121, v123
	ds_write2_b32 v84, v5, v45 offset1:50
	v_add_f32_e32 v5, v93, v121
	v_fmac_f32_e32 v93, -0.5, v28
	v_sub_f32_e32 v28, v120, v122
	v_mov_b32_e32 v44, v93
	v_add_f32_e32 v5, v5, v123
	v_fmac_f32_e32 v44, 0xbf5db3d7, v28
	v_fmac_f32_e32 v93, 0x3f5db3d7, v28
	ds_write2_b32 v6, v5, v44 offset1:50
	ds_write_b32 v6, v93 offset:400
	v_add_f32_e32 v6, v125, v97
	v_add_f32_e32 v5, v108, v125
	v_fmac_f32_e32 v108, -0.5, v6
	v_sub_f32_e32 v6, v124, v126
	v_mov_b32_e32 v28, v108
	v_fmac_f32_e32 v28, 0xbf5db3d7, v6
	v_fmac_f32_e32 v108, 0x3f5db3d7, v6
	v_add_f32_e32 v6, v127, v129
	v_add_f32_e32 v5, v5, v97
	v_fma_f32 v6, -0.5, v6, v94
	ds_write2_b32 v85, v5, v28 offset1:50
	v_sub_f32_e32 v28, v96, v128
	v_mov_b32_e32 v44, v6
	v_add_f32_e32 v45, v131, v133
	v_fmac_f32_e32 v44, 0xbf5db3d7, v28
	v_fmac_f32_e32 v6, 0x3f5db3d7, v28
	v_add_f32_e32 v28, v95, v131
	v_fmac_f32_e32 v95, -0.5, v45
	v_sub_f32_e32 v45, v130, v132
	v_mov_b32_e32 v48, v95
	v_add_f32_e32 v49, v107, v109
	v_add_f32_e32 v5, v94, v127
	v_fmac_f32_e32 v48, 0xbf5db3d7, v45
	v_fmac_f32_e32 v95, 0x3f5db3d7, v45
	v_add_f32_e32 v45, v135, v107
	v_fmac_f32_e32 v135, -0.5, v49
	v_add_f32_e32 v5, v5, v129
	v_sub_f32_e32 v49, v134, v106
	v_mov_b32_e32 v50, v135
	v_add_f32_e32 v28, v28, v133
	v_add_f32_e32 v45, v45, v109
	v_fmac_f32_e32 v50, 0xbf5db3d7, v49
	v_fmac_f32_e32 v135, 0x3f5db3d7, v49
	ds_write_b32 v85, v108 offset:400
	ds_write2_b32 v7, v5, v44 offset1:50
	ds_write_b32 v7, v6 offset:400
	ds_write2_b32 v4, v28, v48 offset1:50
	;; [unrolled: 2-line block ×3, first 2 shown]
	ds_write_b32 v46, v135 offset:400
	v_lshlrev_b32_e32 v4, 1, v0
	v_mov_b32_e32 v5, 0
	v_lshlrev_b64 v[6:7], 3, v[4:5]
	v_mov_b32_e32 v28, s9
	v_add_co_u32_e32 v6, vcc, s8, v6
	v_addc_co_u32_e32 v7, vcc, v28, v7, vcc
	s_waitcnt lgkmcnt(0)
	s_barrier
	global_load_dwordx4 v[48:51], v[6:7], off offset:1120
	v_add_u32_e32 v44, -15, v0
	v_cmp_gt_u32_e32 vcc, 15, v0
	v_cndmask_b32_e32 v44, v44, v38, vcc
	v_lshlrev_b32_e32 v45, 1, v44
	v_mov_b32_e32 v46, v5
	ds_read2_b32 v[106:107], v72 offset0:70 offset1:205
	v_lshlrev_b64 v[45:46], 3, v[45:46]
	v_lshrrev_b32_e32 v111, 22, v29
	v_lshrrev_b32_e32 v113, 22, v30
	v_mul_lo_u16_e32 v29, 0x96, v111
	v_mul_lo_u16_e32 v30, 0x96, v113
	v_add_co_u32_e32 v45, vcc, s8, v45
	v_sub_u16_e32 v112, v36, v29
	v_sub_u16_e32 v114, v52, v30
	v_addc_co_u32_e32 v46, vcc, v28, v46, vcc
	global_load_dwordx4 v[56:59], v[45:46], off offset:1120
	v_lshlrev_b32_e32 v29, 4, v112
	v_lshlrev_b32_e32 v30, 4, v114
	global_load_dwordx4 v[86:89], v29, s[8:9] offset:1120
	global_load_dwordx4 v[90:93], v30, s[8:9] offset:1120
	v_mul_lo_u16_e32 v45, 0x96, v27
	v_sub_u16_e32 v45, v37, v45
	v_lshlrev_b32_e32 v46, 4, v45
	global_load_dwordx4 v[60:63], v46, s[8:9] offset:1120
	v_lshrrev_b32_e32 v70, 22, v47
	v_mul_lo_u16_e32 v47, 0x96, v70
	v_sub_u16_e32 v110, v42, v47
	v_lshlrev_b32_e32 v47, 4, v110
	global_load_dwordx4 v[82:85], v47, s[8:9] offset:1120
	ds_read2_b32 v[108:109], v71 offset0:12 offset1:147
	v_cmp_lt_u32_e32 vcc, 14, v0
	s_waitcnt vmcnt(5) lgkmcnt(1)
	v_mul_f32_e32 v29, v106, v49
	v_fma_f32 v115, v68, v48, -v29
	v_mul_u32_u24_e32 v29, 0xda75, v31
	v_lshrrev_b32_e32 v116, 22, v29
	v_mul_lo_u16_e32 v29, 0x96, v116
	v_sub_u16_e32 v117, v53, v29
	v_lshlrev_b32_e32 v29, 4, v117
	global_load_dwordx4 v[94:97], v29, s[8:9] offset:1120
	v_mul_lo_u16_e32 v46, 0x96, v26
	v_sub_u16_e32 v46, v81, v46
	v_lshlrev_b32_e32 v64, 4, v46
	global_load_dwordx4 v[64:67], v64, s[8:9] offset:1120
	v_mul_f32_e32 v68, v68, v49
	s_waitcnt lgkmcnt(0)
	v_mul_f32_e32 v29, v108, v51
	v_fmac_f32_e32 v68, v106, v48
	v_fma_f32 v106, v98, v50, -v29
	v_mul_u32_u24_e32 v29, 0xda75, v32
	v_lshrrev_b32_e32 v118, 22, v29
	v_mul_lo_u16_e32 v29, 0x96, v118
	v_sub_u16_e32 v119, v54, v29
	v_lshlrev_b32_e32 v29, 4, v119
	global_load_dwordx4 v[29:32], v29, s[8:9] offset:1120
	v_mul_f32_e32 v51, v98, v51
	v_lshlrev_b32_e32 v47, 4, v34
	v_fmac_f32_e32 v51, v108, v50
	global_load_dwordx4 v[47:50], v47, s[8:9] offset:1120
	s_waitcnt vmcnt(8)
	v_mul_f32_e32 v98, v107, v57
	v_mul_f32_e32 v120, v69, v57
	v_fma_f32 v108, v69, v56, -v98
	v_fmac_f32_e32 v120, v107, v56
	v_mul_f32_e32 v69, v109, v59
	ds_read2_b32 v[56:57], v75 offset0:84 offset1:219
	v_mul_f32_e32 v122, v99, v59
	v_fma_f32 v121, v99, v58, -v69
	v_fmac_f32_e32 v122, v109, v58
	ds_read2_b32 v[58:59], v74 offset0:26 offset1:161
	s_waitcnt vmcnt(5) lgkmcnt(1)
	v_mul_f32_e32 v69, v56, v61
	v_mul_f32_e32 v61, v100, v61
	v_fmac_f32_e32 v61, v56, v60
	v_fma_f32 v109, v100, v60, -v69
	s_waitcnt lgkmcnt(0)
	v_mul_f32_e32 v56, v58, v63
	v_fma_f32 v60, v102, v62, -v56
	v_mul_f32_e32 v63, v102, v63
	v_fmac_f32_e32 v63, v58, v62
	v_lshl_add_u32 v34, v34, 2, 0
	s_waitcnt vmcnt(2)
	v_mul_f32_e32 v56, v57, v65
	v_mul_f32_e32 v65, v101, v65
	v_fma_f32 v62, v101, v64, -v56
	v_fmac_f32_e32 v65, v57, v64
	v_mul_f32_e32 v58, v59, v67
	ds_read2_b32 v[56:57], v78 offset0:98 offset1:233
	v_mul_f32_e32 v67, v103, v67
	v_fma_f32 v64, v103, v66, -v58
	v_fmac_f32_e32 v67, v59, v66
	ds_read2_b32 v[58:59], v76 offset0:40 offset1:175
	s_waitcnt lgkmcnt(1)
	v_mul_f32_e32 v66, v56, v83
	v_mul_f32_e32 v83, v104, v83
	v_fmac_f32_e32 v83, v56, v82
	v_fma_f32 v66, v104, v82, -v66
	s_waitcnt lgkmcnt(0)
	v_mul_f32_e32 v56, v58, v85
	v_mul_f32_e32 v85, v24, v85
	v_fma_f32 v82, v24, v84, -v56
	v_fmac_f32_e32 v85, v58, v84
	v_mul_f32_e32 v24, v57, v87
	v_mul_f32_e32 v84, v105, v87
	v_fma_f32 v58, v105, v86, -v24
	v_fmac_f32_e32 v84, v57, v86
	v_mul_f32_e32 v24, v59, v89
	ds_read2_b32 v[56:57], v79 offset0:112 offset1:247
	v_fma_f32 v86, v25, v88, -v24
	v_mul_f32_e32 v87, v25, v89
	ds_read2_b32 v[24:25], v43 offset0:54 offset1:189
	v_fmac_f32_e32 v87, v59, v88
	s_waitcnt lgkmcnt(1)
	v_mul_f32_e32 v59, v56, v91
	v_fma_f32 v59, v22, v90, -v59
	v_mul_f32_e32 v88, v22, v91
	s_waitcnt lgkmcnt(0)
	v_mul_f32_e32 v22, v24, v93
	v_fmac_f32_e32 v88, v56, v90
	v_fma_f32 v89, v20, v92, -v22
	v_mul_f32_e32 v90, v20, v93
	v_mul_f32_e32 v20, v57, v95
	v_fmac_f32_e32 v90, v24, v92
	v_fma_f32 v91, v23, v94, -v20
	v_mul_f32_e32 v92, v23, v95
	v_mul_f32_e32 v20, v25, v97
	ds_read2_b32 v[22:23], v39 offset0:62 offset1:197
	v_fmac_f32_e32 v92, v57, v94
	v_fma_f32 v93, v21, v96, -v20
	v_mul_f32_e32 v94, v21, v97
	ds_read2_b32 v[20:21], v80 offset0:68 offset1:203
	s_waitcnt vmcnt(1) lgkmcnt(1)
	v_mul_f32_e32 v24, v22, v30
	v_fmac_f32_e32 v94, v25, v96
	v_fma_f32 v95, v18, v29, -v24
	v_mul_f32_e32 v96, v18, v30
	s_waitcnt lgkmcnt(0)
	v_mul_f32_e32 v18, v20, v32
	v_fma_f32 v97, v16, v31, -v18
	v_mul_f32_e32 v32, v16, v32
	s_waitcnt vmcnt(0)
	v_mul_f32_e32 v16, v23, v48
	v_fma_f32 v123, v19, v47, -v16
	v_mul_f32_e32 v16, v21, v50
	v_fma_f32 v125, v17, v49, -v16
	v_mul_f32_e32 v126, v17, v50
	v_add_f32_e32 v17, v115, v106
	v_add_f32_e32 v16, v14, v115
	v_fma_f32 v14, -0.5, v17, v14
	v_sub_f32_e32 v17, v68, v51
	v_mul_f32_e32 v124, v19, v48
	v_mov_b32_e32 v18, v14
	v_fmac_f32_e32 v14, 0xbf5db3d7, v17
	v_fmac_f32_e32 v32, v20, v31
	;; [unrolled: 1-line block ×4, first 2 shown]
	v_add_f32_e32 v16, v16, v106
	v_fmac_f32_e32 v18, 0x3f5db3d7, v17
	ds_read_b32 v127, v1 offset:3240
	ds_read_b32 v128, v40 offset:4860
	ds_read2_b32 v[30:31], v1 offset1:135
	ds_read2_b32 v[47:48], v73 offset0:14 offset1:149
	ds_read2_b32 v[49:50], v77 offset0:28 offset1:163
	;; [unrolled: 1-line block ×3, first 2 shown]
	s_waitcnt lgkmcnt(0)
	s_barrier
	v_add_f32_e32 v17, v108, v121
	ds_write_b32 v1, v14 offset:1200
	v_mov_b32_e32 v14, 0x708
	ds_write2_b32 v1, v16, v18 offset1:150
	v_add_f32_e32 v16, v15, v108
	v_fmac_f32_e32 v15, -0.5, v17
	v_cndmask_b32_e32 v14, 0, v14, vcc
	v_lshlrev_b32_e32 v17, 2, v44
	v_add3_u32 v44, 0, v14, v17
	v_add_f32_e32 v14, v16, v121
	v_sub_f32_e32 v16, v120, v122
	v_mov_b32_e32 v17, v15
	v_fmac_f32_e32 v17, 0x3f5db3d7, v16
	v_fmac_f32_e32 v15, 0xbf5db3d7, v16
	ds_write2_b32 v44, v14, v17 offset1:150
	ds_write_b32 v44, v15 offset:1200
	v_mul_u32_u24_e32 v14, 0x708, v27
	v_lshlrev_b32_e32 v15, 2, v45
	v_add3_u32 v45, 0, v14, v15
	v_add_f32_e32 v15, v109, v60
	v_add_f32_e32 v14, v12, v109
	v_fma_f32 v12, -0.5, v15, v12
	v_sub_f32_e32 v15, v61, v63
	v_mov_b32_e32 v16, v12
	v_add_f32_e32 v14, v14, v60
	v_fmac_f32_e32 v16, 0x3f5db3d7, v15
	v_fmac_f32_e32 v12, 0xbf5db3d7, v15
	v_add_f32_e32 v15, v62, v64
	ds_write2_b32 v45, v14, v16 offset1:150
	v_add_f32_e32 v14, v13, v62
	v_fmac_f32_e32 v13, -0.5, v15
	ds_write_b32 v45, v12 offset:1200
	v_mul_u32_u24_e32 v12, 0x708, v26
	v_lshlrev_b32_e32 v15, 2, v46
	v_add3_u32 v46, 0, v12, v15
	v_add_f32_e32 v12, v14, v64
	v_sub_f32_e32 v14, v65, v67
	v_mov_b32_e32 v15, v13
	v_fmac_f32_e32 v15, 0x3f5db3d7, v14
	v_fmac_f32_e32 v13, 0xbf5db3d7, v14
	ds_write2_b32 v46, v12, v15 offset1:150
	ds_write_b32 v46, v13 offset:1200
	v_mul_u32_u24_e32 v12, 0x708, v70
	v_lshlrev_b32_e32 v13, 2, v110
	v_add3_u32 v70, 0, v12, v13
	v_add_f32_e32 v13, v66, v82
	v_add_f32_e32 v12, v10, v66
	v_fma_f32 v10, -0.5, v13, v10
	v_sub_f32_e32 v13, v83, v85
	v_mov_b32_e32 v14, v10
	v_add_f32_e32 v12, v12, v82
	v_fmac_f32_e32 v14, 0x3f5db3d7, v13
	v_fmac_f32_e32 v10, 0xbf5db3d7, v13
	v_add_f32_e32 v13, v58, v86
	ds_write2_b32 v70, v12, v14 offset1:150
	v_add_f32_e32 v12, v11, v58
	v_fmac_f32_e32 v11, -0.5, v13
	ds_write_b32 v70, v10 offset:1200
	v_mul_u32_u24_e32 v10, 0x708, v111
	v_lshlrev_b32_e32 v13, 2, v112
	v_add3_u32 v10, 0, v10, v13
	v_sub_f32_e32 v13, v84, v87
	v_mov_b32_e32 v14, v11
	v_add_f32_e32 v12, v12, v86
	v_fmac_f32_e32 v14, 0x3f5db3d7, v13
	ds_write2_b32 v10, v12, v14 offset1:150
	v_fmac_f32_e32 v11, 0xbf5db3d7, v13
	v_add_f32_e32 v12, v59, v89
	ds_write_b32 v10, v11 offset:1200
	v_add_f32_e32 v11, v35, v59
	v_fmac_f32_e32 v35, -0.5, v12
	v_mul_u32_u24_e32 v12, 0x708, v113
	v_lshlrev_b32_e32 v13, 2, v114
	v_add3_u32 v110, 0, v12, v13
	v_sub_f32_e32 v12, v88, v90
	v_mov_b32_e32 v13, v35
	v_add_f32_e32 v11, v11, v89
	v_fmac_f32_e32 v13, 0x3f5db3d7, v12
	ds_write2_b32 v110, v11, v13 offset1:150
	v_fmac_f32_e32 v35, 0xbf5db3d7, v12
	v_mul_u32_u24_e32 v11, 0x708, v116
	v_lshlrev_b32_e32 v12, 2, v117
	v_add_f32_e32 v13, v91, v93
	v_add3_u32 v11, 0, v11, v12
	v_add_f32_e32 v12, v8, v91
	v_fma_f32 v8, -0.5, v13, v8
	v_sub_f32_e32 v13, v92, v94
	v_mov_b32_e32 v14, v8
	v_add_f32_e32 v12, v12, v93
	v_fmac_f32_e32 v14, 0x3f5db3d7, v13
	v_fmac_f32_e32 v8, 0xbf5db3d7, v13
	v_add_f32_e32 v13, v95, v97
	v_fmac_f32_e32 v96, v22, v29
	ds_write_b32 v110, v35 offset:1200
	ds_write2_b32 v11, v12, v14 offset1:150
	v_add_f32_e32 v12, v9, v95
	v_fmac_f32_e32 v9, -0.5, v13
	ds_write_b32 v11, v8 offset:1200
	v_mul_u32_u24_e32 v8, 0x708, v118
	v_lshlrev_b32_e32 v13, 2, v119
	v_add3_u32 v8, 0, v8, v13
	v_sub_f32_e32 v13, v96, v32
	v_mov_b32_e32 v14, v9
	v_add_f32_e32 v12, v12, v97
	v_fmac_f32_e32 v14, 0x3f5db3d7, v13
	ds_write2_b32 v8, v12, v14 offset1:150
	v_fmac_f32_e32 v9, 0xbf5db3d7, v13
	v_add_f32_e32 v12, v123, v125
	ds_write_b32 v8, v9 offset:1200
	v_add_f32_e32 v9, v33, v123
	v_fmac_f32_e32 v33, -0.5, v12
	v_sub_f32_e32 v12, v124, v126
	v_mov_b32_e32 v13, v33
	v_add_f32_e32 v9, v9, v125
	v_fmac_f32_e32 v13, 0x3f5db3d7, v12
	v_add_u32_e32 v35, 0x3800, v34
	ds_write2_b32 v35, v9, v13 offset0:16 offset1:166
	v_add_f32_e32 v13, v68, v51
	v_fmac_f32_e32 v33, 0xbf5db3d7, v12
	v_add_f32_e32 v9, v30, v68
	ds_write_b32 v34, v33 offset:15600
	v_fma_f32 v33, -0.5, v13, v30
	v_add_f32_e32 v9, v9, v51
	v_sub_f32_e32 v51, v115, v106
	v_mov_b32_e32 v111, v33
	v_fmac_f32_e32 v111, 0xbf5db3d7, v51
	v_fmac_f32_e32 v33, 0x3f5db3d7, v51
	v_add_f32_e32 v51, v120, v122
	s_waitcnt lgkmcnt(0)
	s_barrier
	ds_read_b32 v30, v1 offset:3240
	ds_read_b32 v29, v40 offset:4860
	ds_read2_b32 v[18:19], v1 offset1:135
	ds_read2_b32 v[68:69], v72 offset0:70 offset1:205
	ds_read2_b32 v[98:99], v71 offset0:12 offset1:147
	;; [unrolled: 1-line block ×13, first 2 shown]
	s_waitcnt lgkmcnt(0)
	s_barrier
	ds_write2_b32 v1, v9, v111 offset1:150
	v_add_f32_e32 v9, v31, v120
	v_fmac_f32_e32 v31, -0.5, v51
	v_sub_f32_e32 v51, v108, v121
	ds_write_b32 v1, v33 offset:1200
	v_mov_b32_e32 v33, v31
	v_fmac_f32_e32 v31, 0x3f5db3d7, v51
	v_add_f32_e32 v9, v9, v122
	v_fmac_f32_e32 v33, 0xbf5db3d7, v51
	ds_write_b32 v44, v31 offset:1200
	v_add_f32_e32 v31, v61, v63
	ds_write2_b32 v44, v9, v33 offset1:150
	v_sub_f32_e32 v33, v109, v60
	v_fma_f32 v31, -0.5, v31, v47
	v_add_f32_e32 v9, v47, v61
	v_mov_b32_e32 v44, v31
	v_fmac_f32_e32 v31, 0x3f5db3d7, v33
	v_add_f32_e32 v9, v9, v63
	v_fmac_f32_e32 v44, 0xbf5db3d7, v33
	ds_write_b32 v45, v31 offset:1200
	v_add_f32_e32 v31, v65, v67
	ds_write2_b32 v45, v9, v44 offset1:150
	v_add_f32_e32 v9, v48, v65
	v_fmac_f32_e32 v48, -0.5, v31
	v_sub_f32_e32 v31, v62, v64
	v_mov_b32_e32 v33, v48
	v_add_f32_e32 v9, v9, v67
	v_fmac_f32_e32 v33, 0xbf5db3d7, v31
	v_fmac_f32_e32 v48, 0x3f5db3d7, v31
	v_add_f32_e32 v31, v83, v85
	ds_write2_b32 v46, v9, v33 offset1:150
	v_sub_f32_e32 v33, v66, v82
	v_fma_f32 v31, -0.5, v31, v49
	v_add_f32_e32 v9, v49, v83
	v_mov_b32_e32 v44, v31
	v_fmac_f32_e32 v31, 0x3f5db3d7, v33
	ds_write_b32 v46, v48 offset:1200
	v_add_f32_e32 v9, v9, v85
	v_fmac_f32_e32 v44, 0xbf5db3d7, v33
	ds_write_b32 v70, v31 offset:1200
	v_add_f32_e32 v31, v84, v87
	ds_write2_b32 v70, v9, v44 offset1:150
	v_add_f32_e32 v9, v50, v84
	v_fmac_f32_e32 v50, -0.5, v31
	v_sub_f32_e32 v31, v58, v86
	v_mov_b32_e32 v33, v50
	v_add_f32_e32 v9, v9, v87
	v_fmac_f32_e32 v33, 0xbf5db3d7, v31
	ds_write2_b32 v10, v9, v33 offset1:150
	v_add_f32_e32 v33, v92, v94
	v_fma_f32 v33, -0.5, v33, v56
	v_sub_f32_e32 v44, v91, v93
	v_mov_b32_e32 v45, v33
	v_fmac_f32_e32 v45, 0xbf5db3d7, v44
	v_fmac_f32_e32 v33, 0x3f5db3d7, v44
	v_add_f32_e32 v44, v57, v96
	v_fmac_f32_e32 v50, 0x3f5db3d7, v31
	v_add_f32_e32 v44, v44, v32
	v_add_f32_e32 v32, v96, v32
	ds_write_b32 v10, v50 offset:1200
	v_add_f32_e32 v10, v88, v90
	v_fmac_f32_e32 v57, -0.5, v32
	v_add_f32_e32 v9, v127, v88
	v_fmac_f32_e32 v127, -0.5, v10
	v_sub_f32_e32 v32, v95, v97
	v_mov_b32_e32 v46, v57
	v_add_f32_e32 v47, v124, v126
	v_sub_f32_e32 v10, v59, v89
	v_mov_b32_e32 v31, v127
	v_fmac_f32_e32 v46, 0xbf5db3d7, v32
	v_fmac_f32_e32 v57, 0x3f5db3d7, v32
	v_add_f32_e32 v32, v128, v124
	v_fmac_f32_e32 v128, -0.5, v47
	v_add_f32_e32 v9, v9, v90
	v_fmac_f32_e32 v31, 0xbf5db3d7, v10
	v_fmac_f32_e32 v127, 0x3f5db3d7, v10
	v_add_f32_e32 v10, v56, v92
	v_sub_f32_e32 v47, v123, v125
	v_mov_b32_e32 v48, v128
	v_add_f32_e32 v10, v10, v94
	v_add_f32_e32 v32, v32, v126
	v_fmac_f32_e32 v48, 0xbf5db3d7, v47
	v_fmac_f32_e32 v128, 0x3f5db3d7, v47
	ds_write2_b32 v110, v9, v31 offset1:150
	ds_write_b32 v110, v127 offset:1200
	ds_write2_b32 v11, v10, v45 offset1:150
	ds_write_b32 v11, v33 offset:1200
	;; [unrolled: 2-line block ×3, first 2 shown]
	ds_write2_b32 v35, v32, v48 offset0:16 offset1:166
	ds_write_b32 v34, v128 offset:15600
	v_lshlrev_b32_e32 v8, 1, v38
	v_mov_b32_e32 v9, v5
	v_lshlrev_b64 v[8:9], 3, v[8:9]
	s_waitcnt lgkmcnt(0)
	s_barrier
	global_load_dwordx4 v[32:35], v[6:7], off offset:3520
	v_lshlrev_b32_e32 v10, 1, v37
	v_mov_b32_e32 v11, v5
	v_add_co_u32_e32 v8, vcc, s8, v8
	v_lshlrev_b64 v[10:11], 3, v[10:11]
	v_addc_co_u32_e32 v9, vcc, v28, v9, vcc
	global_load_dwordx4 v[44:47], v[8:9], off offset:3520
	v_add_co_u32_e32 v10, vcc, s8, v10
	v_addc_co_u32_e32 v11, vcc, v28, v11, vcc
	v_subrev_u32_e32 v31, 45, v0
	v_cmp_gt_u32_e32 vcc, 45, v0
	v_cndmask_b32_e32 v31, v31, v81, vcc
	v_lshlrev_b32_e32 v37, 1, v31
	v_mov_b32_e32 v38, v5
	v_lshlrev_b64 v[37:38], 3, v[37:38]
	global_load_dwordx4 v[48:51], v[10:11], off offset:3520
	v_add_co_u32_e32 v37, vcc, s8, v37
	v_addc_co_u32_e32 v38, vcc, v28, v38, vcc
	global_load_dwordx4 v[56:59], v[37:38], off offset:3520
	v_add_u32_e32 v37, 0xb4, v4
	v_mov_b32_e32 v38, v5
	v_lshlrev_b64 v[37:38], 3, v[37:38]
	v_add_u32_e32 v4, 0x1c2, v4
	v_add_co_u32_e32 v37, vcc, s8, v37
	v_addc_co_u32_e32 v38, vcc, v28, v38, vcc
	global_load_dwordx4 v[60:63], v[37:38], off offset:3520
	v_lshlrev_b64 v[37:38], 3, v[4:5]
	v_mul_u32_u24_sdwa v4, v52, s5 dst_sel:DWORD dst_unused:UNUSED_PAD src0_sel:WORD_0 src1_sel:DWORD
	v_add_co_u32_e32 v37, vcc, s8, v37
	v_addc_co_u32_e32 v38, vcc, v28, v38, vcc
	global_load_dwordx4 v[64:67], v[37:38], off offset:3520
	v_mul_u32_u24_sdwa v90, v54, s5 dst_sel:DWORD dst_unused:UNUSED_PAD src0_sel:WORD_0 src1_sel:DWORD
	v_mul_lo_u16_sdwa v28, v4, s4 dst_sel:DWORD dst_unused:UNUSED_PAD src0_sel:BYTE_3 src1_sel:DWORD
	v_mul_lo_u16_sdwa v90, v90, s4 dst_sel:DWORD dst_unused:UNUSED_PAD src0_sel:BYTE_3 src1_sel:DWORD
	v_sub_u16_e32 v28, v52, v28
	v_sub_u16_e32 v110, v54, v90
	v_lshlrev_b32_e32 v37, 4, v28
	v_lshlrev_b32_e32 v90, 4, v110
	global_load_dwordx4 v[82:85], v37, s[8:9] offset:3520
	v_mul_u32_u24_sdwa v94, v55, s5 dst_sel:DWORD dst_unused:UNUSED_PAD src0_sel:WORD_0 src1_sel:DWORD
	global_load_dwordx4 v[90:93], v90, s[8:9] offset:3520
	v_mul_u32_u24_sdwa v37, v53, s5 dst_sel:DWORD dst_unused:UNUSED_PAD src0_sel:WORD_0 src1_sel:DWORD
	v_mul_lo_u16_sdwa v37, v37, s4 dst_sel:DWORD dst_unused:UNUSED_PAD src0_sel:BYTE_3 src1_sel:DWORD
	v_sub_u16_e32 v70, v53, v37
	v_lshlrev_b32_e32 v37, 4, v70
	global_load_dwordx4 v[86:89], v37, s[8:9] offset:3520
	v_mul_lo_u16_sdwa v94, v94, s4 dst_sel:DWORD dst_unused:UNUSED_PAD src0_sel:BYTE_3 src1_sel:DWORD
	v_sub_u16_e32 v112, v55, v94
	v_lshlrev_b32_e32 v94, 4, v112
	global_load_dwordx4 v[94:97], v94, s[8:9] offset:3520
	ds_read2_b32 v[37:38], v72 offset0:70 offset1:205
	ds_read2_b32 v[108:109], v71 offset0:12 offset1:147
	v_cmp_lt_u32_e32 vcc, 44, v0
	v_add_u32_e32 v119, 0x1600, v40
	s_movk_i32 s4, 0x1518
	v_mul_u32_u24_sdwa v4, v4, s4 dst_sel:DWORD dst_unused:UNUSED_PAD src0_sel:BYTE_3 src1_sel:DWORD
	v_add_u32_e32 v120, 0x1c00, v40
	v_lshl_add_u32 v70, v70, 2, 0
	s_movk_i32 s5, 0x1000
	s_movk_i32 s4, 0x2000
	s_waitcnt vmcnt(9) lgkmcnt(1)
	v_mul_f32_e32 v111, v37, v33
	v_fma_f32 v111, v68, v32, -v111
	v_mul_f32_e32 v68, v68, v33
	v_fmac_f32_e32 v68, v37, v32
	s_waitcnt lgkmcnt(0)
	v_mul_f32_e32 v32, v108, v35
	v_fma_f32 v113, v98, v34, -v32
	v_mul_f32_e32 v98, v98, v35
	v_fmac_f32_e32 v98, v108, v34
	s_waitcnt vmcnt(8)
	v_mul_f32_e32 v32, v38, v45
	v_fma_f32 v108, v69, v44, -v32
	ds_read2_b32 v[32:33], v75 offset0:84 offset1:219
	v_mul_f32_e32 v34, v109, v47
	v_fma_f32 v114, v99, v46, -v34
	ds_read2_b32 v[34:35], v74 offset0:26 offset1:161
	v_mul_f32_e32 v99, v99, v47
	v_fmac_f32_e32 v99, v109, v46
	v_mul_f32_e32 v69, v69, v45
	v_fmac_f32_e32 v69, v38, v44
	s_waitcnt vmcnt(7) lgkmcnt(1)
	v_mul_f32_e32 v37, v32, v49
	v_fma_f32 v109, v100, v48, -v37
	v_mul_f32_e32 v100, v100, v49
	v_fmac_f32_e32 v100, v32, v48
	s_waitcnt lgkmcnt(0)
	v_mul_f32_e32 v32, v34, v51
	v_fma_f32 v115, v102, v50, -v32
	v_mul_f32_e32 v102, v102, v51
	s_waitcnt vmcnt(6)
	v_mul_f32_e32 v32, v33, v57
	v_fmac_f32_e32 v102, v34, v50
	v_fma_f32 v116, v101, v56, -v32
	v_mul_f32_e32 v101, v101, v57
	v_mul_f32_e32 v34, v35, v59
	v_fmac_f32_e32 v101, v33, v56
	ds_read2_b32 v[32:33], v78 offset0:98 offset1:233
	v_fma_f32 v117, v103, v58, -v34
	v_mul_f32_e32 v103, v103, v59
	v_fmac_f32_e32 v103, v35, v58
	ds_read2_b32 v[34:35], v76 offset0:40 offset1:175
	s_waitcnt vmcnt(5) lgkmcnt(1)
	v_mul_f32_e32 v37, v32, v61
	v_mul_f32_e32 v61, v104, v61
	v_fmac_f32_e32 v61, v32, v60
	v_fma_f32 v118, v104, v60, -v37
	s_waitcnt lgkmcnt(0)
	v_mul_f32_e32 v32, v34, v63
	v_fma_f32 v104, v106, v62, -v32
	v_mul_f32_e32 v63, v106, v63
	s_waitcnt vmcnt(4)
	v_mul_f32_e32 v32, v33, v65
	v_mul_f32_e32 v65, v105, v65
	v_fmac_f32_e32 v63, v34, v62
	v_fma_f32 v62, v105, v64, -v32
	v_fmac_f32_e32 v65, v33, v64
	v_mul_f32_e32 v34, v35, v67
	ds_read2_b32 v[32:33], v79 offset0:112 offset1:247
	v_mul_f32_e32 v67, v107, v67
	v_fma_f32 v64, v107, v66, -v34
	v_fmac_f32_e32 v67, v35, v66
	ds_read2_b32 v[34:35], v43 offset0:54 offset1:189
	s_waitcnt vmcnt(3) lgkmcnt(1)
	v_mul_f32_e32 v37, v32, v83
	v_fma_f32 v66, v26, v82, -v37
	v_mul_f32_e32 v83, v26, v83
	v_fmac_f32_e32 v83, v32, v82
	s_waitcnt lgkmcnt(0)
	v_mul_f32_e32 v26, v34, v85
	v_fma_f32 v82, v24, v84, -v26
	v_mul_f32_e32 v85, v24, v85
	s_waitcnt vmcnt(1)
	v_mul_f32_e32 v24, v33, v87
	v_fmac_f32_e32 v85, v34, v84
	v_fma_f32 v84, v27, v86, -v24
	v_mul_f32_e32 v87, v27, v87
	v_mul_f32_e32 v24, v35, v89
	ds_read2_b32 v[26:27], v39 offset0:62 offset1:197
	v_fmac_f32_e32 v87, v33, v86
	v_fma_f32 v86, v25, v88, -v24
	v_mul_f32_e32 v89, v25, v89
	ds_read2_b32 v[24:25], v80 offset0:68 offset1:203
	s_waitcnt lgkmcnt(1)
	v_mul_f32_e32 v32, v26, v91
	v_fmac_f32_e32 v89, v35, v88
	v_fma_f32 v88, v22, v90, -v32
	v_mul_f32_e32 v91, v22, v91
	s_waitcnt lgkmcnt(0)
	v_mul_f32_e32 v22, v24, v93
	v_fmac_f32_e32 v91, v26, v90
	v_fma_f32 v90, v20, v92, -v22
	v_mul_f32_e32 v93, v20, v93
	s_waitcnt vmcnt(0)
	v_mul_f32_e32 v20, v27, v95
	v_fmac_f32_e32 v93, v24, v92
	v_fma_f32 v92, v23, v94, -v20
	v_mul_f32_e32 v95, v23, v95
	v_mul_f32_e32 v20, v25, v97
	v_fmac_f32_e32 v95, v27, v94
	v_fma_f32 v94, v21, v96, -v20
	v_mul_f32_e32 v97, v21, v97
	v_add_f32_e32 v21, v108, v114
	v_add_f32_e32 v20, v19, v108
	v_fmac_f32_e32 v19, -0.5, v21
	v_add_f32_e32 v21, v111, v113
	v_fma_f32 v21, -0.5, v21, v18
	v_sub_f32_e32 v22, v68, v98
	v_sub_f32_e32 v24, v69, v99
	v_fmac_f32_e32 v97, v25, v96
	v_mov_b32_e32 v23, v21
	v_fmac_f32_e32 v21, 0xbf5db3d7, v22
	v_mov_b32_e32 v25, v19
	v_fmac_f32_e32 v19, 0xbf5db3d7, v24
	v_add_u32_e32 v106, 0xe00, v1
	v_add_f32_e32 v18, v18, v111
	ds_read_b32 v96, v1 offset:3240
	ds_read_b32 v105, v40 offset:4860
	ds_read2_b32 v[37:38], v1 offset1:135
	ds_read2_b32 v[44:45], v73 offset0:14 offset1:149
	ds_read2_b32 v[57:58], v77 offset0:28 offset1:163
	;; [unrolled: 1-line block ×3, first 2 shown]
	s_waitcnt lgkmcnt(0)
	s_barrier
	ds_write2_b32 v106, v21, v19 offset0:4 offset1:139
	v_add_f32_e32 v18, v18, v113
	v_add_f32_e32 v19, v20, v114
	ds_write2_b32 v1, v18, v19 offset1:135
	v_add_f32_e32 v18, v16, v109
	v_fmac_f32_e32 v23, 0x3f5db3d7, v22
	v_add_f32_e32 v18, v18, v115
	ds_write2_b32 v73, v18, v23 offset0:14 offset1:194
	v_add_f32_e32 v18, v109, v115
	v_fma_f32 v16, -0.5, v18, v16
	v_sub_f32_e32 v18, v100, v102
	v_mov_b32_e32 v19, v16
	v_fmac_f32_e32 v25, 0x3f5db3d7, v24
	v_fmac_f32_e32 v19, 0x3f5db3d7, v18
	;; [unrolled: 1-line block ×3, first 2 shown]
	ds_write2_b32 v77, v25, v19 offset0:73 offset1:208
	v_add_f32_e32 v19, v116, v117
	ds_write_b32 v1, v16 offset:4680
	v_mov_b32_e32 v16, 0x1518
	v_add_f32_e32 v18, v17, v116
	v_fmac_f32_e32 v17, -0.5, v19
	v_cndmask_b32_e32 v16, 0, v16, vcc
	v_lshlrev_b32_e32 v19, 2, v31
	v_add3_u32 v31, 0, v16, v19
	v_sub_f32_e32 v16, v101, v103
	v_mov_b32_e32 v19, v17
	v_fmac_f32_e32 v17, 0xbf5db3d7, v16
	ds_write_b32 v31, v17 offset:3600
	v_add_f32_e32 v17, v62, v64
	v_fmac_f32_e32 v19, 0x3f5db3d7, v16
	v_add_f32_e32 v16, v15, v62
	v_fmac_f32_e32 v15, -0.5, v17
	v_add_f32_e32 v17, v18, v117
	ds_write_b32 v31, v17
	ds_write_b32 v31, v19 offset:1800
	v_add_f32_e32 v17, v118, v104
	v_fma_f32 v17, -0.5, v17, v14
	v_sub_f32_e32 v18, v61, v63
	v_sub_f32_e32 v20, v65, v67
	v_mov_b32_e32 v19, v17
	v_fmac_f32_e32 v17, 0xbf5db3d7, v18
	v_mov_b32_e32 v21, v15
	v_fmac_f32_e32 v15, 0xbf5db3d7, v20
	v_add_u32_e32 v107, 0x2400, v40
	v_add_f32_e32 v14, v14, v118
	ds_write2_b32 v107, v17, v15 offset0:36 offset1:171
	v_add_f32_e32 v14, v14, v104
	v_add_f32_e32 v15, v16, v64
	ds_write2_b32 v119, v14, v15 offset0:32 offset1:167
	v_add_f32_e32 v14, v69, v99
	v_add_f32_e32 v15, v66, v82
	v_sub_f32_e32 v111, v111, v113
	v_add_f32_e32 v113, v38, v69
	v_fmac_f32_e32 v38, -0.5, v14
	v_add_f32_e32 v14, v30, v66
	v_fmac_f32_e32 v30, -0.5, v15
	v_sub_f32_e32 v15, v83, v85
	v_mov_b32_e32 v16, v30
	v_add_f32_e32 v17, v88, v90
	v_fmac_f32_e32 v16, 0x3f5db3d7, v15
	v_fmac_f32_e32 v30, 0xbf5db3d7, v15
	v_add_f32_e32 v15, v13, v88
	v_fmac_f32_e32 v13, -0.5, v17
	v_lshlrev_b32_e32 v17, 2, v28
	v_fmac_f32_e32 v19, 0x3f5db3d7, v18
	v_fmac_f32_e32 v21, 0x3f5db3d7, v20
	v_add3_u32 v4, 0, v4, v17
	v_add_f32_e32 v14, v14, v82
	ds_write2_b32 v120, v19, v21 offset0:98 offset1:233
	ds_write_b32 v4, v14
	ds_write_b32 v4, v16 offset:1800
	ds_write_b32 v4, v30 offset:3600
	v_add_f32_e32 v14, v84, v86
	v_fma_f32 v14, -0.5, v14, v12
	v_sub_f32_e32 v16, v87, v89
	v_mov_b32_e32 v17, v14
	v_fmac_f32_e32 v14, 0xbf5db3d7, v16
	ds_write_b32 v70, v14 offset:14400
	v_sub_f32_e32 v14, v91, v93
	v_mov_b32_e32 v18, v13
	v_add_f32_e32 v12, v12, v84
	v_sub_f32_e32 v69, v108, v114
	v_fmac_f32_e32 v13, 0xbf5db3d7, v14
	v_lshl_add_u32 v108, v110, 2, 0
	v_fmac_f32_e32 v18, 0x3f5db3d7, v14
	v_add_f32_e32 v14, v92, v94
	v_add_f32_e32 v12, v12, v86
	ds_write_b32 v108, v13 offset:14400
	v_fmac_f32_e32 v17, 0x3f5db3d7, v16
	v_add_f32_e32 v13, v29, v92
	v_fmac_f32_e32 v29, -0.5, v14
	ds_write_b32 v70, v12 offset:10800
	ds_write_b32 v70, v17 offset:12600
	v_add_f32_e32 v12, v15, v90
	v_sub_f32_e32 v14, v95, v97
	v_mov_b32_e32 v16, v29
	ds_write_b32 v108, v12 offset:10800
	ds_write_b32 v108, v18 offset:12600
	v_add_f32_e32 v12, v13, v94
	v_lshl_add_u32 v110, v112, 2, 0
	v_fmac_f32_e32 v16, 0x3f5db3d7, v14
	v_fmac_f32_e32 v29, 0xbf5db3d7, v14
	ds_write_b32 v110, v12 offset:10800
	ds_write_b32 v110, v16 offset:12600
	;; [unrolled: 1-line block ×3, first 2 shown]
	v_add_f32_e32 v12, v68, v98
	v_fma_f32 v112, -0.5, v12, v37
	v_mov_b32_e32 v114, v112
	v_fmac_f32_e32 v112, 0x3f5db3d7, v111
	v_mov_b32_e32 v121, v38
	v_fmac_f32_e32 v38, 0x3f5db3d7, v69
	v_add_f32_e32 v37, v37, v68
	s_waitcnt lgkmcnt(0)
	s_barrier
	ds_read_b32 v56, v1 offset:3240
	ds_read_b32 v30, v40 offset:4860
	ds_read2_b32 v[12:13], v1 offset1:135
	ds_read2_b32 v[16:17], v72 offset0:70 offset1:205
	ds_read2_b32 v[14:15], v71 offset0:12 offset1:147
	;; [unrolled: 1-line block ×13, first 2 shown]
	s_waitcnt lgkmcnt(0)
	s_barrier
	ds_write2_b32 v106, v112, v38 offset0:4 offset1:139
	v_add_f32_e32 v37, v37, v98
	v_add_f32_e32 v38, v113, v99
	ds_write2_b32 v1, v37, v38 offset1:135
	v_add_f32_e32 v37, v44, v100
	v_fmac_f32_e32 v114, 0xbf5db3d7, v111
	v_add_f32_e32 v37, v37, v102
	ds_write2_b32 v73, v37, v114 offset0:14 offset1:194
	v_add_f32_e32 v37, v100, v102
	v_fma_f32 v37, -0.5, v37, v44
	v_sub_f32_e32 v38, v109, v115
	v_mov_b32_e32 v44, v37
	v_fmac_f32_e32 v121, 0xbf5db3d7, v69
	v_fmac_f32_e32 v44, 0xbf5db3d7, v38
	ds_write2_b32 v77, v121, v44 offset0:73 offset1:208
	v_add_f32_e32 v44, v101, v103
	v_fmac_f32_e32 v37, 0x3f5db3d7, v38
	v_add_f32_e32 v38, v45, v101
	v_fmac_f32_e32 v45, -0.5, v44
	v_sub_f32_e32 v44, v116, v117
	ds_write_b32 v1, v37 offset:4680
	v_mov_b32_e32 v37, v45
	v_fmac_f32_e32 v45, 0x3f5db3d7, v44
	v_add_f32_e32 v38, v38, v103
	ds_write_b32 v31, v45 offset:3600
	v_fmac_f32_e32 v37, 0xbf5db3d7, v44
	ds_write_b32 v31, v38
	ds_write_b32 v31, v37 offset:1800
	v_add_f32_e32 v38, v65, v67
	v_add_f32_e32 v44, v61, v63
	v_sub_f32_e32 v31, v118, v104
	v_add_f32_e32 v37, v58, v65
	v_fmac_f32_e32 v58, -0.5, v38
	v_sub_f32_e32 v38, v62, v64
	v_fma_f32 v44, -0.5, v44, v57
	v_mov_b32_e32 v45, v44
	v_fmac_f32_e32 v44, 0x3f5db3d7, v31
	v_mov_b32_e32 v62, v58
	v_fmac_f32_e32 v58, 0x3f5db3d7, v38
	ds_write2_b32 v107, v44, v58 offset0:36 offset1:171
	v_add_f32_e32 v44, v57, v61
	v_add_f32_e32 v44, v44, v63
	;; [unrolled: 1-line block ×3, first 2 shown]
	ds_write2_b32 v119, v44, v37 offset0:32 offset1:167
	v_add_f32_e32 v44, v87, v89
	v_fmac_f32_e32 v45, 0xbf5db3d7, v31
	v_fmac_f32_e32 v62, 0xbf5db3d7, v38
	v_add_f32_e32 v37, v83, v85
	v_fma_f32 v44, -0.5, v44, v59
	ds_write2_b32 v120, v45, v62 offset0:98 offset1:233
	v_add_f32_e32 v31, v96, v83
	v_fmac_f32_e32 v96, -0.5, v37
	v_sub_f32_e32 v45, v84, v86
	v_mov_b32_e32 v57, v44
	v_add_f32_e32 v58, v91, v93
	v_sub_f32_e32 v37, v66, v82
	v_mov_b32_e32 v38, v96
	v_fmac_f32_e32 v57, 0xbf5db3d7, v45
	v_fmac_f32_e32 v44, 0x3f5db3d7, v45
	v_add_f32_e32 v45, v60, v91
	v_fmac_f32_e32 v60, -0.5, v58
	v_fmac_f32_e32 v38, 0xbf5db3d7, v37
	v_fmac_f32_e32 v96, 0x3f5db3d7, v37
	v_add_f32_e32 v37, v59, v87
	v_sub_f32_e32 v58, v88, v90
	v_mov_b32_e32 v59, v60
	v_add_f32_e32 v61, v95, v97
	v_fmac_f32_e32 v59, 0xbf5db3d7, v58
	v_fmac_f32_e32 v60, 0x3f5db3d7, v58
	v_add_f32_e32 v58, v105, v95
	v_fmac_f32_e32 v105, -0.5, v61
	v_add_f32_e32 v31, v31, v85
	v_sub_f32_e32 v61, v92, v94
	v_mov_b32_e32 v62, v105
	v_add_f32_e32 v37, v37, v89
	v_add_f32_e32 v45, v45, v93
	;; [unrolled: 1-line block ×3, first 2 shown]
	v_fmac_f32_e32 v62, 0xbf5db3d7, v61
	v_fmac_f32_e32 v105, 0x3f5db3d7, v61
	ds_write_b32 v4, v31
	ds_write_b32 v4, v38 offset:1800
	ds_write_b32 v4, v96 offset:3600
	;; [unrolled: 1-line block ×11, first 2 shown]
	s_waitcnt lgkmcnt(0)
	s_barrier
	s_and_saveexec_b64 s[6:7], s[0:1]
	s_cbranch_execz .LBB0_13
; %bb.12:
	v_lshlrev_b32_e32 v4, 1, v55
	v_lshlrev_b64 v[37:38], 3, v[4:5]
	v_mov_b32_e32 v88, s9
	v_add_co_u32_e32 v4, vcc, s8, v37
	v_addc_co_u32_e32 v31, vcc, v88, v38, vcc
	v_add_co_u32_e32 v37, vcc, 0x2000, v4
	v_addc_co_u32_e32 v38, vcc, 0, v31, vcc
	v_lshlrev_b32_e32 v4, 1, v54
	global_load_dwordx4 v[57:60], v[37:38], off offset:2528
	v_lshlrev_b64 v[37:38], 3, v[4:5]
	s_movk_i32 s0, 0x5000
	v_add_co_u32_e32 v4, vcc, s8, v37
	v_addc_co_u32_e32 v31, vcc, v88, v38, vcc
	v_add_co_u32_e32 v37, vcc, s4, v4
	v_addc_co_u32_e32 v38, vcc, 0, v31, vcc
	global_load_dwordx4 v[61:64], v[37:38], off offset:2528
	v_lshlrev_b32_e32 v4, 1, v53
	v_lshlrev_b64 v[37:38], 3, v[4:5]
	s_movk_i32 s1, 0x3000
	v_add_co_u32_e32 v4, vcc, s8, v37
	v_addc_co_u32_e32 v31, vcc, v88, v38, vcc
	v_add_co_u32_e32 v37, vcc, s4, v4
	v_addc_co_u32_e32 v38, vcc, 0, v31, vcc
	global_load_dwordx4 v[65:68], v[37:38], off offset:2528
	v_lshlrev_b32_e32 v4, 1, v52
	ds_read2_b32 v[37:38], v39 offset0:62 offset1:197
	ds_read2_b32 v[44:45], v80 offset0:68 offset1:203
	;; [unrolled: 1-line block ×3, first 2 shown]
	ds_read_b32 v31, v40 offset:4860
	ds_read_b32 v89, v1 offset:3240
	v_lshlrev_b64 v[39:40], 3, v[4:5]
	ds_read2_b32 v[86:87], v43 offset0:54 offset1:189
	v_add_co_u32_e32 v4, vcc, s8, v39
	v_addc_co_u32_e32 v40, vcc, v88, v40, vcc
	v_add_co_u32_e32 v39, vcc, s4, v4
	v_addc_co_u32_e32 v40, vcc, 0, v40, vcc
	global_load_dwordx4 v[82:85], v[39:40], off offset:2528
	s_waitcnt vmcnt(3) lgkmcnt(5)
	v_mul_f32_e32 v4, v58, v38
	v_mul_f32_e32 v38, v57, v38
	s_waitcnt lgkmcnt(4)
	v_mul_f32_e32 v40, v59, v45
	v_mul_f32_e32 v39, v60, v45
	v_fmac_f32_e32 v38, v27, v58
	v_fmac_f32_e32 v40, v29, v60
	v_fma_f32 v4, v27, v57, -v4
	s_waitcnt lgkmcnt(2)
	v_add_f32_e32 v27, v38, v31
	s_waitcnt vmcnt(2)
	v_mul_f32_e32 v41, v62, v37
	v_mul_f32_e32 v80, v61, v37
	;; [unrolled: 1-line block ×4, first 2 shown]
	v_fma_f32 v37, v29, v59, -v39
	v_fma_f32 v61, v26, v61, -v41
	v_fmac_f32_e32 v80, v26, v62
	v_add_f32_e32 v26, v38, v40
	v_fma_f32 v63, v28, v63, -v45
	v_fmac_f32_e32 v44, v28, v64
	v_sub_f32_e32 v45, v4, v37
	v_add_f32_e32 v28, v4, v37
	v_add_f32_e32 v4, v30, v4
	v_fma_f32 v29, -0.5, v26, v31
	v_add_f32_e32 v41, v80, v70
	v_add_f32_e32 v31, v40, v27
	v_fma_f32 v28, -0.5, v28, v30
	v_add_f32_e32 v30, v4, v37
	v_mov_b32_e32 v27, v29
	v_lshlrev_b32_e32 v4, 1, v36
	v_sub_f32_e32 v38, v38, v40
	v_add_f32_e32 v39, v80, v44
	v_add_f32_e32 v41, v44, v41
	v_fmac_f32_e32 v29, 0xbf5db3d7, v45
	v_fmac_f32_e32 v27, 0x3f5db3d7, v45
	v_sub_f32_e32 v40, v80, v44
	v_lshlrev_b64 v[44:45], 3, v[4:5]
	ds_read2_b32 v[79:80], v79 offset0:112 offset1:247
	v_add_co_u32_e32 v4, vcc, s8, v44
	v_add_f32_e32 v58, v61, v63
	v_mov_b32_e32 v26, v28
	v_addc_co_u32_e32 v36, vcc, v88, v45, vcc
	v_fmac_f32_e32 v28, 0x3f5db3d7, v38
	v_fmac_f32_e32 v26, 0xbf5db3d7, v38
	v_fma_f32 v38, -0.5, v58, v51
	v_add_co_u32_e32 v44, vcc, s4, v4
	v_addc_co_u32_e32 v45, vcc, 0, v36, vcc
	v_mov_b32_e32 v36, v38
	v_add_f32_e32 v4, v51, v61
	v_fma_f32 v39, -0.5, v39, v70
	v_fmac_f32_e32 v36, 0xbf5db3d7, v40
	v_fmac_f32_e32 v38, 0x3f5db3d7, v40
	v_add_f32_e32 v40, v4, v63
	s_waitcnt vmcnt(1) lgkmcnt(0)
	v_mul_f32_e32 v4, v66, v80
	v_sub_f32_e32 v57, v61, v63
	v_mov_b32_e32 v37, v39
	v_fma_f32 v70, v49, v65, -v4
	v_mul_f32_e32 v65, v65, v80
	v_fmac_f32_e32 v39, 0xbf5db3d7, v57
	v_fmac_f32_e32 v37, 0x3f5db3d7, v57
	global_load_dwordx4 v[57:60], v[44:45], off offset:2528
	v_fmac_f32_e32 v65, v49, v66
	v_mul_f32_e32 v49, v67, v87
	v_mul_f32_e32 v4, v68, v87
	v_fmac_f32_e32 v49, v47, v68
	v_fma_f32 v90, v47, v67, -v4
	v_add_f32_e32 v4, v65, v49
	v_fma_f32 v45, -0.5, v4, v69
	v_lshlrev_b32_e32 v4, 1, v42
	v_lshlrev_b64 v[61:62], 3, v[4:5]
	v_sub_f32_e32 v44, v70, v90
	v_add_co_u32_e32 v4, vcc, s8, v61
	v_addc_co_u32_e32 v42, vcc, v88, v62, vcc
	v_add_co_u32_e32 v61, vcc, s4, v4
	v_addc_co_u32_e32 v62, vcc, 0, v42, vcc
	global_load_dwordx4 v[61:64], v[61:62], off offset:2528
	v_add_f32_e32 v4, v65, v69
	v_mov_b32_e32 v43, v45
	v_add_f32_e32 v51, v49, v4
	v_add_f32_e32 v4, v70, v90
	v_fmac_f32_e32 v43, 0x3f5db3d7, v44
	v_fmac_f32_e32 v45, 0xbf5db3d7, v44
	v_fma_f32 v44, -0.5, v4, v50
	v_sub_f32_e32 v4, v65, v49
	v_mov_b32_e32 v42, v44
	v_fmac_f32_e32 v42, 0xbf5db3d7, v4
	v_fmac_f32_e32 v44, 0x3f5db3d7, v4
	v_add_f32_e32 v4, v50, v70
	v_add_f32_e32 v50, v4, v90
	s_waitcnt vmcnt(2)
	v_mul_f32_e32 v4, v83, v79
	v_mul_f32_e32 v68, v82, v79
	;; [unrolled: 1-line block ×3, first 2 shown]
	v_fma_f32 v65, v48, v82, -v4
	v_mul_f32_e32 v4, v85, v86
	v_fmac_f32_e32 v68, v48, v83
	v_fmac_f32_e32 v79, v46, v85
	v_fma_f32 v66, v46, v84, -v4
	v_add_f32_e32 v4, v68, v79
	v_fma_f32 v70, -0.5, v4, v89
	v_lshlrev_b32_e32 v4, 1, v81
	v_lshlrev_b64 v[46:47], 3, v[4:5]
	ds_read2_b32 v[83:84], v78 offset0:98 offset1:233
	v_add_co_u32_e32 v4, vcc, s8, v46
	v_addc_co_u32_e32 v47, vcc, v88, v47, vcc
	v_add_co_u32_e32 v46, vcc, s4, v4
	v_addc_co_u32_e32 v47, vcc, 0, v47, vcc
	global_load_dwordx4 v[46:49], v[46:47], off offset:2528
	v_add_f32_e32 v4, v68, v89
	v_add_f32_e32 v82, v79, v4
	;; [unrolled: 1-line block ×3, first 2 shown]
	ds_read2_b32 v[85:86], v76 offset0:40 offset1:175
	v_fma_f32 v69, -0.5, v4, v56
	v_sub_f32_e32 v4, v68, v79
	v_mov_b32_e32 v79, v69
	v_add_co_u32_e32 v10, vcc, s4, v10
	v_sub_f32_e32 v67, v65, v66
	v_mov_b32_e32 v80, v70
	v_fmac_f32_e32 v79, 0xbf5db3d7, v4
	v_fmac_f32_e32 v69, 0x3f5db3d7, v4
	v_add_f32_e32 v4, v56, v65
	ds_read2_b32 v[76:77], v77 offset0:28 offset1:163
	v_addc_co_u32_e32 v11, vcc, 0, v11, vcc
	v_fmac_f32_e32 v80, 0x3f5db3d7, v67
	v_fmac_f32_e32 v70, 0xbf5db3d7, v67
	v_add_f32_e32 v81, v4, v66
	global_load_dwordx4 v[65:68], v[10:11], off offset:2528
	v_add_co_u32_e32 v8, vcc, s4, v8
	v_addc_co_u32_e32 v9, vcc, 0, v9, vcc
	s_waitcnt vmcnt(3) lgkmcnt(2)
	v_mul_f32_e32 v4, v58, v84
	v_mul_f32_e32 v84, v57, v84
	s_waitcnt lgkmcnt(1)
	v_mul_f32_e32 v10, v59, v86
	v_fmac_f32_e32 v84, v35, v58
	v_fmac_f32_e32 v10, v33, v60
	v_mul_f32_e32 v56, v60, v86
	v_add_f32_e32 v11, v84, v10
	v_fma_f32 v4, v35, v57, -v4
	v_fma_f32 v87, v33, v59, -v56
	s_waitcnt lgkmcnt(0)
	v_fma_f32 v57, -0.5, v11, v77
	v_add_f32_e32 v11, v84, v77
	v_sub_f32_e32 v56, v4, v87
	v_mov_b32_e32 v59, v57
	v_add_f32_e32 v78, v10, v11
	v_add_f32_e32 v11, v4, v87
	v_fmac_f32_e32 v59, 0x3f5db3d7, v56
	v_fmac_f32_e32 v57, 0xbf5db3d7, v56
	v_fma_f32 v56, -0.5, v11, v25
	v_sub_f32_e32 v10, v84, v10
	v_mov_b32_e32 v58, v56
	v_fmac_f32_e32 v58, 0xbf5db3d7, v10
	v_fmac_f32_e32 v56, 0x3f5db3d7, v10
	global_load_dwordx4 v[8:11], v[8:9], off offset:2528
	v_add_f32_e32 v4, v25, v4
	v_add_f32_e32 v77, v4, v87
	s_waitcnt vmcnt(3)
	v_mul_f32_e32 v4, v62, v83
	v_mul_f32_e32 v33, v61, v83
	v_fma_f32 v4, v34, v61, -v4
	v_fmac_f32_e32 v33, v34, v62
	v_mul_f32_e32 v34, v63, v85
	v_mul_f32_e32 v25, v64, v85
	v_fmac_f32_e32 v34, v32, v64
	v_fma_f32 v84, v32, v63, -v25
	v_add_f32_e32 v32, v33, v34
	v_fma_f32 v61, -0.5, v32, v76
	v_add_f32_e32 v32, v4, v84
	v_sub_f32_e32 v25, v4, v84
	v_mov_b32_e32 v63, v61
	v_fma_f32 v60, -0.5, v32, v24
	v_add_co_u32_e32 v6, vcc, s4, v6
	v_fmac_f32_e32 v63, 0x3f5db3d7, v25
	v_fmac_f32_e32 v61, 0xbf5db3d7, v25
	v_add_f32_e32 v25, v33, v76
	v_sub_f32_e32 v32, v33, v34
	v_mov_b32_e32 v62, v60
	v_addc_co_u32_e32 v7, vcc, 0, v7, vcc
	v_add_f32_e32 v25, v34, v25
	v_fmac_f32_e32 v62, 0xbf5db3d7, v32
	v_fmac_f32_e32 v60, 0x3f5db3d7, v32
	global_load_dwordx4 v[32:35], v[6:7], off offset:2528
	ds_read2_b32 v[75:76], v75 offset0:84 offset1:219
	ds_read2_b32 v[6:7], v74 offset0:26 offset1:161
	;; [unrolled: 1-line block ×3, first 2 shown]
	v_add_f32_e32 v4, v24, v4
	v_add_f32_e32 v24, v4, v84
	s_waitcnt vmcnt(3) lgkmcnt(2)
	v_mul_f32_e32 v4, v47, v76
	s_waitcnt lgkmcnt(1)
	v_mul_f32_e32 v64, v49, v7
	v_mul_f32_e32 v76, v46, v76
	;; [unrolled: 1-line block ×3, first 2 shown]
	v_fmac_f32_e32 v76, v23, v47
	v_fmac_f32_e32 v7, v21, v49
	v_fma_f32 v64, v21, v48, -v64
	v_add_f32_e32 v21, v76, v7
	v_fma_f32 v4, v23, v46, -v4
	s_waitcnt lgkmcnt(0)
	v_fma_f32 v47, -0.5, v21, v74
	v_add_f32_e32 v21, v76, v74
	v_sub_f32_e32 v83, v4, v64
	v_mov_b32_e32 v49, v47
	v_add_f32_e32 v84, v7, v21
	v_add_f32_e32 v21, v4, v64
	;; [unrolled: 1-line block ×3, first 2 shown]
	v_fmac_f32_e32 v49, 0x3f5db3d7, v83
	v_fmac_f32_e32 v47, 0xbf5db3d7, v83
	v_fma_f32 v46, -0.5, v21, v19
	v_add_f32_e32 v83, v4, v64
	s_waitcnt vmcnt(2)
	v_mul_f32_e32 v23, v65, v75
	v_mul_f32_e32 v64, v67, v6
	v_sub_f32_e32 v7, v76, v7
	v_mov_b32_e32 v48, v46
	v_fmac_f32_e32 v23, v22, v66
	v_fmac_f32_e32 v64, v20, v68
	;; [unrolled: 1-line block ×4, first 2 shown]
	v_mul_f32_e32 v7, v68, v6
	v_add_f32_e32 v6, v23, v64
	v_mul_f32_e32 v4, v66, v75
	v_fma_f32 v21, v20, v67, -v7
	v_fma_f32 v7, -0.5, v6, v73
	v_add_f32_e32 v6, v23, v73
	ds_read2_b32 v[66:67], v71 offset0:12 offset1:147
	v_fma_f32 v4, v22, v65, -v4
	v_add_f32_e32 v22, v64, v6
	v_sub_f32_e32 v23, v23, v64
	ds_read2_b32 v[64:65], v72 offset0:70 offset1:205
	v_add_f32_e32 v6, v4, v21
	v_sub_f32_e32 v19, v4, v21
	v_mov_b32_e32 v20, v7
	v_fma_f32 v6, -0.5, v6, v18
	ds_read2_b32 v[71:72], v1 offset1:135
	v_fmac_f32_e32 v20, 0x3f5db3d7, v19
	v_fmac_f32_e32 v7, 0xbf5db3d7, v19
	v_mov_b32_e32 v19, v6
	v_add_f32_e32 v4, v18, v4
	s_waitcnt vmcnt(1) lgkmcnt(2)
	v_mul_f32_e32 v18, v11, v67
	v_fmac_f32_e32 v19, 0xbf5db3d7, v23
	v_fmac_f32_e32 v6, 0x3f5db3d7, v23
	v_fma_f32 v23, v15, v10, -v18
	s_waitcnt lgkmcnt(1)
	v_mul_f32_e32 v1, v8, v65
	v_mul_f32_e32 v10, v10, v67
	v_add_f32_e32 v21, v4, v21
	v_mul_f32_e32 v4, v9, v65
	v_fmac_f32_e32 v1, v17, v9
	v_fmac_f32_e32 v10, v15, v11
	v_fma_f32 v4, v17, v8, -v4
	v_add_f32_e32 v8, v1, v10
	s_waitcnt lgkmcnt(0)
	v_fma_f32 v9, -0.5, v8, v72
	v_sub_f32_e32 v18, v4, v23
	v_mov_b32_e32 v11, v9
	v_add_f32_e32 v8, v1, v72
	v_fmac_f32_e32 v11, 0x3f5db3d7, v18
	v_fmac_f32_e32 v9, 0xbf5db3d7, v18
	v_add_f32_e32 v18, v10, v8
	v_add_f32_e32 v8, v4, v23
	v_fma_f32 v8, -0.5, v8, v13
	v_sub_f32_e32 v1, v1, v10
	v_mov_b32_e32 v10, v8
	v_fmac_f32_e32 v10, 0xbf5db3d7, v1
	v_fmac_f32_e32 v8, 0x3f5db3d7, v1
	v_add_f32_e32 v1, v13, v4
	v_add_f32_e32 v17, v1, v23
	s_waitcnt vmcnt(0)
	v_mul_f32_e32 v15, v32, v64
	v_mul_f32_e32 v23, v34, v66
	;; [unrolled: 1-line block ×3, first 2 shown]
	v_fmac_f32_e32 v15, v16, v33
	v_fmac_f32_e32 v23, v14, v35
	v_mul_f32_e32 v1, v33, v64
	v_fma_f32 v4, v14, v34, -v4
	v_add_f32_e32 v14, v15, v23
	v_fma_f32 v1, v16, v32, -v1
	v_fma_f32 v14, -0.5, v14, v71
	v_sub_f32_e32 v13, v1, v4
	v_mov_b32_e32 v16, v14
	v_fmac_f32_e32 v16, 0x3f5db3d7, v13
	v_fmac_f32_e32 v14, 0xbf5db3d7, v13
	v_add_f32_e32 v13, v15, v71
	v_add_f32_e32 v33, v23, v13
	v_add_f32_e32 v13, v1, v4
	v_fma_f32 v13, -0.5, v13, v12
	v_add_f32_e32 v1, v12, v1
	v_sub_f32_e32 v23, v15, v23
	v_mov_b32_e32 v15, v13
	v_add_f32_e32 v32, v1, v4
	v_mov_b32_e32 v1, v5
	v_fmac_f32_e32 v15, 0xbf5db3d7, v23
	v_fmac_f32_e32 v13, 0x3f5db3d7, v23
	v_mov_b32_e32 v4, s3
	v_add_co_u32_e32 v23, vcc, s2, v2
	v_lshlrev_b64 v[0:1], 3, v[0:1]
	v_addc_co_u32_e32 v34, vcc, v4, v3, vcc
	v_add_co_u32_e32 v0, vcc, v23, v0
	v_addc_co_u32_e32 v1, vcc, v34, v1, vcc
	v_add_co_u32_e32 v2, vcc, s4, v0
	;; [unrolled: 2-line block ×3, first 2 shown]
	global_store_dwordx2 v[2:3], v[13:14], off offset:2608
	v_addc_co_u32_e32 v13, vcc, 0, v1, vcc
	global_store_dwordx2 v[0:1], v[32:33], off
	global_store_dwordx2 v[12:13], v[15:16], off offset:1120
	global_store_dwordx2 v[0:1], v[17:18], off offset:1080
	;; [unrolled: 1-line block ×5, first 2 shown]
	v_add_co_u32_e32 v2, vcc, s1, v0
	v_addc_co_u32_e32 v3, vcc, 0, v1, vcc
	s_movk_i32 s1, 0x6000
	global_store_dwordx2 v[2:3], v[6:7], off offset:672
	global_store_dwordx2 v[12:13], v[19:20], off offset:3280
	;; [unrolled: 1-line block ×4, first 2 shown]
	v_add_co_u32_e32 v6, vcc, s1, v0
	s_mov_b32 s1, 0xc22e4507
	v_mul_hi_u32 v4, v52, s1
	v_addc_co_u32_e32 v7, vcc, 0, v1, vcc
	v_add_co_u32_e32 v0, vcc, s5, v0
	v_addc_co_u32_e32 v1, vcc, 0, v1, vcc
	global_store_dwordx2 v[6:7], v[48:49], off offset:264
	global_store_dwordx2 v[0:1], v[24:25], off offset:224
	;; [unrolled: 1-line block ×7, first 2 shown]
	v_lshrrev_b32_e32 v0, 10, v4
	s_movk_i32 s2, 0xa8c
	v_mad_u32_u24 v4, v0, s2, v52
	v_lshlrev_b64 v[0:1], 3, v[4:5]
	v_add_co_u32_e32 v0, vcc, v23, v0
	v_addc_co_u32_e32 v1, vcc, v34, v1, vcc
	v_add_co_u32_e32 v2, vcc, s4, v0
	v_addc_co_u32_e32 v3, vcc, 0, v1, vcc
	global_store_dwordx2 v[2:3], v[69:70], off offset:2608
	v_mul_hi_u32 v2, v53, s1
	global_store_dwordx2 v[0:1], v[81:82], off
	v_add_co_u32_e32 v0, vcc, s0, v0
	v_addc_co_u32_e32 v1, vcc, 0, v1, vcc
	global_store_dwordx2 v[0:1], v[79:80], off offset:1120
	v_lshrrev_b32_e32 v0, 10, v2
	v_mad_u32_u24 v4, v0, s2, v53
	v_lshlrev_b64 v[0:1], 3, v[4:5]
	v_add_co_u32_e32 v0, vcc, v23, v0
	v_addc_co_u32_e32 v1, vcc, v34, v1, vcc
	v_add_co_u32_e32 v2, vcc, s4, v0
	v_addc_co_u32_e32 v3, vcc, 0, v1, vcc
	global_store_dwordx2 v[2:3], v[44:45], off offset:2608
	v_mul_hi_u32 v2, v54, s1
	global_store_dwordx2 v[0:1], v[50:51], off
	v_add_co_u32_e32 v0, vcc, s0, v0
	v_addc_co_u32_e32 v1, vcc, 0, v1, vcc
	global_store_dwordx2 v[0:1], v[42:43], off offset:1120
	v_lshrrev_b32_e32 v0, 10, v2
	;; [unrolled: 13-line block ×3, first 2 shown]
	v_mad_u32_u24 v4, v0, s2, v55
	v_lshlrev_b64 v[0:1], 3, v[4:5]
	v_add_co_u32_e32 v0, vcc, v23, v0
	v_addc_co_u32_e32 v1, vcc, v34, v1, vcc
	v_add_co_u32_e32 v2, vcc, 0x2000, v0
	v_addc_co_u32_e32 v3, vcc, 0, v1, vcc
	global_store_dwordx2 v[0:1], v[30:31], off
	v_add_co_u32_e32 v0, vcc, 0x5000, v0
	v_addc_co_u32_e32 v1, vcc, 0, v1, vcc
	global_store_dwordx2 v[2:3], v[28:29], off offset:2608
	global_store_dwordx2 v[0:1], v[26:27], off offset:1120
.LBB0_13:
	s_endpgm
	.section	.rodata,"a",@progbits
	.p2align	6, 0x0
	.amdhsa_kernel fft_rtc_fwd_len4050_factors_10_5_3_3_3_3_wgs_135_tpt_135_halfLds_sp_ip_CI_unitstride_sbrr_dirReg
		.amdhsa_group_segment_fixed_size 0
		.amdhsa_private_segment_fixed_size 0
		.amdhsa_kernarg_size 88
		.amdhsa_user_sgpr_count 6
		.amdhsa_user_sgpr_private_segment_buffer 1
		.amdhsa_user_sgpr_dispatch_ptr 0
		.amdhsa_user_sgpr_queue_ptr 0
		.amdhsa_user_sgpr_kernarg_segment_ptr 1
		.amdhsa_user_sgpr_dispatch_id 0
		.amdhsa_user_sgpr_flat_scratch_init 0
		.amdhsa_user_sgpr_private_segment_size 0
		.amdhsa_uses_dynamic_stack 0
		.amdhsa_system_sgpr_private_segment_wavefront_offset 0
		.amdhsa_system_sgpr_workgroup_id_x 1
		.amdhsa_system_sgpr_workgroup_id_y 0
		.amdhsa_system_sgpr_workgroup_id_z 0
		.amdhsa_system_sgpr_workgroup_info 0
		.amdhsa_system_vgpr_workitem_id 0
		.amdhsa_next_free_vgpr 137
		.amdhsa_next_free_sgpr 22
		.amdhsa_reserve_vcc 1
		.amdhsa_reserve_flat_scratch 0
		.amdhsa_float_round_mode_32 0
		.amdhsa_float_round_mode_16_64 0
		.amdhsa_float_denorm_mode_32 3
		.amdhsa_float_denorm_mode_16_64 3
		.amdhsa_dx10_clamp 1
		.amdhsa_ieee_mode 1
		.amdhsa_fp16_overflow 0
		.amdhsa_exception_fp_ieee_invalid_op 0
		.amdhsa_exception_fp_denorm_src 0
		.amdhsa_exception_fp_ieee_div_zero 0
		.amdhsa_exception_fp_ieee_overflow 0
		.amdhsa_exception_fp_ieee_underflow 0
		.amdhsa_exception_fp_ieee_inexact 0
		.amdhsa_exception_int_div_zero 0
	.end_amdhsa_kernel
	.text
.Lfunc_end0:
	.size	fft_rtc_fwd_len4050_factors_10_5_3_3_3_3_wgs_135_tpt_135_halfLds_sp_ip_CI_unitstride_sbrr_dirReg, .Lfunc_end0-fft_rtc_fwd_len4050_factors_10_5_3_3_3_3_wgs_135_tpt_135_halfLds_sp_ip_CI_unitstride_sbrr_dirReg
                                        ; -- End function
	.section	.AMDGPU.csdata,"",@progbits
; Kernel info:
; codeLenInByte = 18056
; NumSgprs: 26
; NumVgprs: 137
; ScratchSize: 0
; MemoryBound: 0
; FloatMode: 240
; IeeeMode: 1
; LDSByteSize: 0 bytes/workgroup (compile time only)
; SGPRBlocks: 3
; VGPRBlocks: 34
; NumSGPRsForWavesPerEU: 26
; NumVGPRsForWavesPerEU: 137
; Occupancy: 1
; WaveLimiterHint : 1
; COMPUTE_PGM_RSRC2:SCRATCH_EN: 0
; COMPUTE_PGM_RSRC2:USER_SGPR: 6
; COMPUTE_PGM_RSRC2:TRAP_HANDLER: 0
; COMPUTE_PGM_RSRC2:TGID_X_EN: 1
; COMPUTE_PGM_RSRC2:TGID_Y_EN: 0
; COMPUTE_PGM_RSRC2:TGID_Z_EN: 0
; COMPUTE_PGM_RSRC2:TIDIG_COMP_CNT: 0
	.type	__hip_cuid_712009ff1c3a822b,@object ; @__hip_cuid_712009ff1c3a822b
	.section	.bss,"aw",@nobits
	.globl	__hip_cuid_712009ff1c3a822b
__hip_cuid_712009ff1c3a822b:
	.byte	0                               ; 0x0
	.size	__hip_cuid_712009ff1c3a822b, 1

	.ident	"AMD clang version 19.0.0git (https://github.com/RadeonOpenCompute/llvm-project roc-6.4.0 25133 c7fe45cf4b819c5991fe208aaa96edf142730f1d)"
	.section	".note.GNU-stack","",@progbits
	.addrsig
	.addrsig_sym __hip_cuid_712009ff1c3a822b
	.amdgpu_metadata
---
amdhsa.kernels:
  - .args:
      - .actual_access:  read_only
        .address_space:  global
        .offset:         0
        .size:           8
        .value_kind:     global_buffer
      - .offset:         8
        .size:           8
        .value_kind:     by_value
      - .actual_access:  read_only
        .address_space:  global
        .offset:         16
        .size:           8
        .value_kind:     global_buffer
      - .actual_access:  read_only
        .address_space:  global
        .offset:         24
        .size:           8
        .value_kind:     global_buffer
      - .offset:         32
        .size:           8
        .value_kind:     by_value
      - .actual_access:  read_only
        .address_space:  global
        .offset:         40
        .size:           8
        .value_kind:     global_buffer
      - .actual_access:  read_only
        .address_space:  global
        .offset:         48
        .size:           8
        .value_kind:     global_buffer
      - .offset:         56
        .size:           4
        .value_kind:     by_value
      - .actual_access:  read_only
        .address_space:  global
        .offset:         64
        .size:           8
        .value_kind:     global_buffer
      - .actual_access:  read_only
        .address_space:  global
        .offset:         72
        .size:           8
        .value_kind:     global_buffer
      - .address_space:  global
        .offset:         80
        .size:           8
        .value_kind:     global_buffer
    .group_segment_fixed_size: 0
    .kernarg_segment_align: 8
    .kernarg_segment_size: 88
    .language:       OpenCL C
    .language_version:
      - 2
      - 0
    .max_flat_workgroup_size: 135
    .name:           fft_rtc_fwd_len4050_factors_10_5_3_3_3_3_wgs_135_tpt_135_halfLds_sp_ip_CI_unitstride_sbrr_dirReg
    .private_segment_fixed_size: 0
    .sgpr_count:     26
    .sgpr_spill_count: 0
    .symbol:         fft_rtc_fwd_len4050_factors_10_5_3_3_3_3_wgs_135_tpt_135_halfLds_sp_ip_CI_unitstride_sbrr_dirReg.kd
    .uniform_work_group_size: 1
    .uses_dynamic_stack: false
    .vgpr_count:     137
    .vgpr_spill_count: 0
    .wavefront_size: 64
amdhsa.target:   amdgcn-amd-amdhsa--gfx906
amdhsa.version:
  - 1
  - 2
...

	.end_amdgpu_metadata
